;; amdgpu-corpus repo=ROCm/rocFFT kind=compiled arch=gfx1030 opt=O3
	.text
	.amdgcn_target "amdgcn-amd-amdhsa--gfx1030"
	.amdhsa_code_object_version 6
	.protected	bluestein_single_back_len3375_dim1_dp_op_CI_CI ; -- Begin function bluestein_single_back_len3375_dim1_dp_op_CI_CI
	.globl	bluestein_single_back_len3375_dim1_dp_op_CI_CI
	.p2align	8
	.type	bluestein_single_back_len3375_dim1_dp_op_CI_CI,@function
bluestein_single_back_len3375_dim1_dp_op_CI_CI: ; @bluestein_single_back_len3375_dim1_dp_op_CI_CI
; %bb.0:
	s_load_dwordx4 s[12:15], s[4:5], 0x28
	v_mul_u32_u24_e32 v1, 0x124, v0
	s_mov_b64 s[26:27], s[2:3]
	s_mov_b64 s[24:25], s[0:1]
	v_mov_b32_e32 v2, 0
	s_add_u32 s24, s24, s7
	v_lshrrev_b32_e32 v3, 16, v1
	s_addc_u32 s25, s25, 0
	s_mov_b32 s0, exec_lo
	v_add_nc_u32_e32 v1, s6, v3
	s_waitcnt lgkmcnt(0)
	v_cmpx_gt_u64_e64 s[12:13], v[1:2]
	s_cbranch_execz .LBB0_2
; %bb.1:
	s_clause 0x2
	s_load_dwordx4 s[8:11], s[4:5], 0x0
	s_load_dwordx4 s[16:19], s[4:5], 0x18
	s_load_dwordx2 s[12:13], s[4:5], 0x38
	v_mov_b32_e32 v96, 4
	s_waitcnt lgkmcnt(0)
	s_load_dwordx4 s[0:3], s[18:19], 0x0
	s_mov_b32 s19, 0xbfebb67a
	s_waitcnt lgkmcnt(0)
	v_mad_u64_u32 v[6:7], null, s2, v1, 0
	v_mov_b32_e32 v2, v7
	v_mad_u64_u32 v[4:5], null, s3, v1, v[2:3]
	v_mov_b32_e32 v7, v4
	buffer_store_dword v6, off, s[24:27], 0 offset:208 ; 4-byte Folded Spill
	buffer_store_dword v7, off, s[24:27], 0 offset:212 ; 4-byte Folded Spill
	s_load_dwordx4 s[4:7], s[16:17], 0x0
	s_waitcnt lgkmcnt(0)
	v_mad_u64_u32 v[4:5], null, s6, v1, 0
	s_mul_hi_u32 s3, s4, 0x2a30
	v_mov_b32_e32 v2, v5
	v_mad_u64_u32 v[1:2], null, s7, v1, v[2:3]
	v_mov_b32_e32 v5, v1
	v_mul_lo_u16 v1, 0xe1, v3
	v_sub_nc_u16 v88, v0, v1
	v_and_b32_e32 v3, 0xffff, v88
	v_mov_b32_e32 v10, v3
	v_mad_u64_u32 v[0:1], null, s4, v3, 0
	v_lshlrev_b32_e32 v76, 4, v10
	v_add_co_u32 v86, null, 0x2a3, v10
	v_mov_b32_e32 v102, v10
	v_mad_u64_u32 v[1:2], null, s5, v3, v[1:2]
	global_load_dwordx4 v[11:14], v76, s[8:9]
	v_lshlrev_b64 v[2:3], 4, v[4:5]
	v_add_co_u32 v95, s2, s8, v76
	v_add_co_ci_u32_e64 v79, null, s9, 0, s2
	v_lshlrev_b64 v[0:1], 4, v[0:1]
	v_add_co_u32 v2, vcc_lo, s14, v2
	v_add_co_ci_u32_e32 v3, vcc_lo, s15, v3, vcc_lo
	s_mul_i32 s2, s5, 0x2a30
	v_add_co_u32 v8, vcc_lo, v2, v0
	v_add_co_ci_u32_e32 v9, vcc_lo, v3, v1, vcc_lo
	s_add_i32 s2, s3, s2
	s_mul_i32 s3, s4, 0x2a30
	s_mul_i32 s5, s5, 0xffff6550
	global_load_dwordx4 v[0:3], v[8:9], off
	v_add_co_u32 v8, vcc_lo, v8, s3
	v_add_co_ci_u32_e32 v9, vcc_lo, s2, v9, vcc_lo
	s_sub_i32 s5, s5, s4
	s_mov_b32 s15, 0xbfee6f0e
	v_add_co_u32 v89, s6, 0xe1, v102
	v_add_co_ci_u32_e64 v78, null, 0, 0, s6
	s_mov_b32 s6, 0x4755a5e
	s_mov_b32 s7, 0x3fe2cf23
	;; [unrolled: 1-line block ×4, first 2 shown]
	v_add_co_u32 v90, null, 0x1c2, v102
	v_add_co_u32 v87, null, 0x384, v102
	s_waitcnt vmcnt(1)
	buffer_store_dword v11, off, s[24:27], 0 offset:216 ; 4-byte Folded Spill
	buffer_store_dword v12, off, s[24:27], 0 offset:220 ; 4-byte Folded Spill
	;; [unrolled: 1-line block ×4, first 2 shown]
	s_waitcnt vmcnt(0)
	v_mul_f64 v[4:5], v[2:3], v[13:14]
	v_fma_f64 v[4:5], v[0:1], v[11:12], v[4:5]
	v_mul_f64 v[0:1], v[0:1], v[13:14]
	v_fma_f64 v[6:7], v[2:3], v[11:12], -v[0:1]
	global_load_dwordx4 v[0:3], v[8:9], off
	ds_write_b128 v76, v[4:7]
	v_add_co_u32 v4, vcc_lo, 0x2800, v95
	v_add_co_ci_u32_e32 v5, vcc_lo, 0, v79, vcc_lo
	v_add_co_u32 v8, vcc_lo, v8, s3
	v_add_co_ci_u32_e32 v9, vcc_lo, s2, v9, vcc_lo
	global_load_dwordx4 v[10:13], v[4:5], off offset:560
	s_waitcnt vmcnt(0)
	buffer_store_dword v10, off, s[24:27], 0 offset:232 ; 4-byte Folded Spill
	buffer_store_dword v11, off, s[24:27], 0 offset:236 ; 4-byte Folded Spill
	;; [unrolled: 1-line block ×4, first 2 shown]
	v_mul_f64 v[4:5], v[2:3], v[12:13]
	v_fma_f64 v[4:5], v[0:1], v[10:11], v[4:5]
	v_mul_f64 v[0:1], v[0:1], v[12:13]
	v_fma_f64 v[6:7], v[2:3], v[10:11], -v[0:1]
	global_load_dwordx4 v[0:3], v[8:9], off
	ds_write_b128 v76, v[4:7] offset:10800
	v_add_co_u32 v4, vcc_lo, 0x5000, v95
	v_add_co_ci_u32_e32 v5, vcc_lo, 0, v79, vcc_lo
	v_add_co_u32 v8, vcc_lo, v8, s3
	v_add_co_ci_u32_e32 v9, vcc_lo, s2, v9, vcc_lo
	global_load_dwordx4 v[10:13], v[4:5], off offset:1120
	s_waitcnt vmcnt(0)
	buffer_store_dword v10, off, s[24:27], 0 offset:64 ; 4-byte Folded Spill
	buffer_store_dword v11, off, s[24:27], 0 offset:68 ; 4-byte Folded Spill
	;; [unrolled: 1-line block ×4, first 2 shown]
	v_mul_f64 v[4:5], v[2:3], v[12:13]
	v_fma_f64 v[4:5], v[0:1], v[10:11], v[4:5]
	v_mul_f64 v[0:1], v[0:1], v[12:13]
	v_fma_f64 v[6:7], v[2:3], v[10:11], -v[0:1]
	global_load_dwordx4 v[0:3], v[8:9], off
	ds_write_b128 v76, v[4:7] offset:21600
	v_add_co_u32 v4, vcc_lo, 0x7800, v95
	v_add_co_ci_u32_e32 v5, vcc_lo, 0, v79, vcc_lo
	v_add_co_u32 v8, vcc_lo, v8, s3
	v_add_co_ci_u32_e32 v9, vcc_lo, s2, v9, vcc_lo
	global_load_dwordx4 v[10:13], v[4:5], off offset:1680
	s_waitcnt vmcnt(0)
	buffer_store_dword v10, off, s[24:27], 0 offset:112 ; 4-byte Folded Spill
	buffer_store_dword v11, off, s[24:27], 0 offset:116 ; 4-byte Folded Spill
	;; [unrolled: 1-line block ×4, first 2 shown]
	v_mul_f64 v[4:5], v[2:3], v[12:13]
	v_fma_f64 v[4:5], v[0:1], v[10:11], v[4:5]
	v_mul_f64 v[0:1], v[0:1], v[12:13]
	v_fma_f64 v[6:7], v[2:3], v[10:11], -v[0:1]
	global_load_dwordx4 v[0:3], v[8:9], off
	v_mad_u64_u32 v[8:9], null, 0xffff6550, s4, v[8:9]
	v_add_nc_u32_e32 v9, s5, v9
	ds_write_b128 v76, v[4:7] offset:32400
	v_add_co_u32 v4, vcc_lo, 0xa800, v95
	v_add_co_ci_u32_e32 v5, vcc_lo, 0, v79, vcc_lo
	global_load_dwordx4 v[10:13], v[4:5], off offset:192
	s_waitcnt vmcnt(0)
	buffer_store_dword v10, off, s[24:27], 0 offset:144 ; 4-byte Folded Spill
	buffer_store_dword v11, off, s[24:27], 0 offset:148 ; 4-byte Folded Spill
	buffer_store_dword v12, off, s[24:27], 0 offset:152 ; 4-byte Folded Spill
	buffer_store_dword v13, off, s[24:27], 0 offset:156 ; 4-byte Folded Spill
	v_mul_f64 v[4:5], v[2:3], v[12:13]
	v_fma_f64 v[4:5], v[0:1], v[10:11], v[4:5]
	v_mul_f64 v[0:1], v[0:1], v[12:13]
	v_fma_f64 v[6:7], v[2:3], v[10:11], -v[0:1]
	global_load_dwordx4 v[0:3], v[8:9], off
	ds_write_b128 v76, v[4:7] offset:43200
	v_add_co_u32 v4, vcc_lo, 0x800, v95
	v_add_co_ci_u32_e32 v5, vcc_lo, 0, v79, vcc_lo
	v_add_co_u32 v8, vcc_lo, v8, s3
	v_add_co_ci_u32_e32 v9, vcc_lo, s2, v9, vcc_lo
	global_load_dwordx4 v[10:13], v[4:5], off offset:1552
	s_waitcnt vmcnt(0)
	buffer_store_dword v10, off, s[24:27], 0 offset:160 ; 4-byte Folded Spill
	buffer_store_dword v11, off, s[24:27], 0 offset:164 ; 4-byte Folded Spill
	buffer_store_dword v12, off, s[24:27], 0 offset:168 ; 4-byte Folded Spill
	buffer_store_dword v13, off, s[24:27], 0 offset:172 ; 4-byte Folded Spill
	v_mul_f64 v[4:5], v[2:3], v[12:13]
	v_fma_f64 v[4:5], v[0:1], v[10:11], v[4:5]
	v_mul_f64 v[0:1], v[0:1], v[12:13]
	v_fma_f64 v[6:7], v[2:3], v[10:11], -v[0:1]
	global_load_dwordx4 v[0:3], v[8:9], off
	ds_write_b128 v76, v[4:7] offset:3600
	v_add_co_u32 v4, vcc_lo, 0x3800, v95
	v_add_co_ci_u32_e32 v5, vcc_lo, 0, v79, vcc_lo
	;; [unrolled: 16-line block ×4, first 2 shown]
	v_add_co_u32 v8, vcc_lo, v8, s3
	v_add_co_ci_u32_e32 v9, vcc_lo, s2, v9, vcc_lo
	global_load_dwordx4 v[10:13], v[4:5], off offset:1184
	s_waitcnt vmcnt(0)
	buffer_store_dword v10, off, s[24:27], 0 offset:48 ; 4-byte Folded Spill
	buffer_store_dword v11, off, s[24:27], 0 offset:52 ; 4-byte Folded Spill
	;; [unrolled: 1-line block ×4, first 2 shown]
	v_mul_f64 v[4:5], v[2:3], v[12:13]
	v_fma_f64 v[4:5], v[0:1], v[10:11], v[4:5]
	v_mul_f64 v[0:1], v[0:1], v[12:13]
	v_fma_f64 v[6:7], v[2:3], v[10:11], -v[0:1]
	global_load_dwordx4 v[0:3], v[8:9], off
	v_mad_u64_u32 v[8:9], null, 0xffff6550, s4, v[8:9]
	v_add_nc_u32_e32 v9, s5, v9
	s_mov_b32 s4, 0x372fe950
	s_mov_b32 s5, 0x3fd3c6ef
	ds_write_b128 v76, v[4:7] offset:36000
	v_add_co_u32 v4, vcc_lo, 0xb000, v95
	v_add_co_ci_u32_e32 v5, vcc_lo, 0, v79, vcc_lo
	global_load_dwordx4 v[10:13], v[4:5], off offset:1744
	s_waitcnt vmcnt(0)
	buffer_store_dword v10, off, s[24:27], 0 offset:80 ; 4-byte Folded Spill
	buffer_store_dword v11, off, s[24:27], 0 offset:84 ; 4-byte Folded Spill
	buffer_store_dword v12, off, s[24:27], 0 offset:88 ; 4-byte Folded Spill
	buffer_store_dword v13, off, s[24:27], 0 offset:92 ; 4-byte Folded Spill
	v_mul_f64 v[4:5], v[2:3], v[12:13]
	v_fma_f64 v[4:5], v[0:1], v[10:11], v[4:5]
	v_mul_f64 v[0:1], v[0:1], v[12:13]
	v_fma_f64 v[6:7], v[2:3], v[10:11], -v[0:1]
	global_load_dwordx4 v[0:3], v[8:9], off
	ds_write_b128 v76, v[4:7] offset:46800
	v_add_co_u32 v4, vcc_lo, 0x1800, v95
	v_add_co_ci_u32_e32 v5, vcc_lo, 0, v79, vcc_lo
	v_add_co_u32 v8, vcc_lo, v8, s3
	v_add_co_ci_u32_e32 v9, vcc_lo, s2, v9, vcc_lo
	global_load_dwordx4 v[10:13], v[4:5], off offset:1056
	s_waitcnt vmcnt(0)
	buffer_store_dword v10, off, s[24:27], 0 offset:96 ; 4-byte Folded Spill
	buffer_store_dword v11, off, s[24:27], 0 offset:100 ; 4-byte Folded Spill
	buffer_store_dword v12, off, s[24:27], 0 offset:104 ; 4-byte Folded Spill
	buffer_store_dword v13, off, s[24:27], 0 offset:108 ; 4-byte Folded Spill
	v_mul_f64 v[4:5], v[2:3], v[12:13]
	v_fma_f64 v[4:5], v[0:1], v[10:11], v[4:5]
	v_mul_f64 v[0:1], v[0:1], v[12:13]
	v_fma_f64 v[6:7], v[2:3], v[10:11], -v[0:1]
	global_load_dwordx4 v[0:3], v[8:9], off
	ds_write_b128 v76, v[4:7] offset:7200
	v_add_co_u32 v4, vcc_lo, 0x4000, v95
	v_add_co_ci_u32_e32 v5, vcc_lo, 0, v79, vcc_lo
	;; [unrolled: 16-line block ×4, first 2 shown]
	global_load_dwordx4 v[10:13], v[4:5], off offset:688
	s_waitcnt vmcnt(0)
	buffer_store_dword v10, off, s[24:27], 0 offset:192 ; 4-byte Folded Spill
	buffer_store_dword v11, off, s[24:27], 0 offset:196 ; 4-byte Folded Spill
	;; [unrolled: 1-line block ×4, first 2 shown]
	v_mul_f64 v[4:5], v[2:3], v[12:13]
	v_fma_f64 v[4:5], v[0:1], v[10:11], v[4:5]
	v_mul_f64 v[0:1], v[0:1], v[12:13]
	v_fma_f64 v[6:7], v[2:3], v[10:11], -v[0:1]
	v_add_co_u32 v0, vcc_lo, v8, s3
	v_add_co_ci_u32_e32 v1, vcc_lo, s2, v9, vcc_lo
	s_mov_b32 s2, 0x134454ff
	s_mov_b32 s3, 0x3fee6f0e
	;; [unrolled: 1-line block ×3, first 2 shown]
	global_load_dwordx4 v[0:3], v[0:1], off
	ds_write_b128 v76, v[4:7] offset:39600
	v_add_co_u32 v4, vcc_lo, 0xc000, v95
	v_add_co_ci_u32_e32 v5, vcc_lo, 0, v79, vcc_lo
	v_cmp_gt_u16_e32 vcc_lo, 0x7d, v88
	global_load_dwordx4 v[6:9], v[4:5], off offset:1248
	s_waitcnt vmcnt(0)
	buffer_store_dword v6, off, s[24:27], 0 ; 4-byte Folded Spill
	buffer_store_dword v7, off, s[24:27], 0 offset:4 ; 4-byte Folded Spill
	buffer_store_dword v8, off, s[24:27], 0 offset:8 ; 4-byte Folded Spill
	;; [unrolled: 1-line block ×3, first 2 shown]
	v_mul_f64 v[4:5], v[2:3], v[8:9]
	v_fma_f64 v[4:5], v[0:1], v[6:7], v[4:5]
	v_mul_f64 v[0:1], v[0:1], v[8:9]
	v_fma_f64 v[6:7], v[2:3], v[6:7], -v[0:1]
	ds_write_b128 v76, v[4:7] offset:50400
	s_waitcnt lgkmcnt(0)
	s_waitcnt_vscnt null, 0x0
	s_barrier
	buffer_gl0_inv
	ds_read_b128 v[12:15], v76
	ds_read_b128 v[18:21], v76 offset:10800
	ds_read_b128 v[22:25], v76 offset:21600
	;; [unrolled: 1-line block ×14, first 2 shown]
	s_waitcnt lgkmcnt(0)
	s_barrier
	buffer_gl0_inv
	v_add_f64 v[0:1], v[12:13], v[18:19]
	v_add_f64 v[8:9], v[18:19], -v[22:23]
	v_add_f64 v[2:3], v[22:23], v[26:27]
	v_add_f64 v[6:7], v[20:21], -v[38:39]
	v_add_f64 v[10:11], v[24:25], -v[28:29]
	;; [unrolled: 1-line block ×4, first 2 shown]
	v_add_f64 v[0:1], v[0:1], v[22:23]
	v_fma_f64 v[2:3], v[2:3], -0.5, v[12:13]
	v_add_f64 v[8:9], v[8:9], v[16:17]
	v_add_f64 v[16:17], v[22:23], -v[18:19]
	v_add_f64 v[22:23], v[22:23], -v[26:27]
	v_add_f64 v[0:1], v[0:1], v[26:27]
	v_add_f64 v[26:27], v[20:21], -v[24:25]
	v_fma_f64 v[4:5], v[6:7], s[2:3], v[2:3]
	v_fma_f64 v[2:3], v[6:7], s[14:15], v[2:3]
	v_add_f64 v[16:17], v[16:17], v[30:31]
	v_add_f64 v[30:31], v[38:39], -v[28:29]
	v_add_f64 v[0:1], v[0:1], v[36:37]
	v_fma_f64 v[4:5], v[10:11], s[6:7], v[4:5]
	v_fma_f64 v[2:3], v[10:11], s[8:9], v[2:3]
	v_add_f64 v[26:27], v[26:27], v[30:31]
	v_add_f64 v[30:31], v[74:75], -v[62:63]
	v_fma_f64 v[4:5], v[8:9], s[4:5], v[4:5]
	v_fma_f64 v[8:9], v[8:9], s[4:5], v[2:3]
	v_add_f64 v[2:3], v[18:19], v[36:37]
	v_add_f64 v[18:19], v[18:19], -v[36:37]
	v_add_f64 v[36:37], v[64:65], -v[60:61]
	v_fma_f64 v[2:3], v[2:3], -0.5, v[12:13]
	v_fma_f64 v[12:13], v[10:11], s[14:15], v[2:3]
	v_fma_f64 v[2:3], v[10:11], s[2:3], v[2:3]
	;; [unrolled: 1-line block ×4, first 2 shown]
	v_add_f64 v[6:7], v[24:25], v[28:29]
	v_fma_f64 v[12:13], v[16:17], s[4:5], v[12:13]
	v_fma_f64 v[16:17], v[16:17], s[4:5], v[2:3]
	v_fma_f64 v[10:11], v[6:7], -0.5, v[14:15]
	v_add_f64 v[2:3], v[14:15], v[20:21]
	v_fma_f64 v[6:7], v[18:19], s[14:15], v[10:11]
	v_fma_f64 v[10:11], v[18:19], s[2:3], v[10:11]
	v_add_f64 v[2:3], v[2:3], v[24:25]
	v_fma_f64 v[6:7], v[22:23], s[8:9], v[6:7]
	v_fma_f64 v[10:11], v[22:23], s[6:7], v[10:11]
	;; [unrolled: 3-line block ×3, first 2 shown]
	v_add_f64 v[26:27], v[20:21], v[38:39]
	v_add_f64 v[20:21], v[24:25], -v[20:21]
	v_add_f64 v[24:25], v[28:29], -v[38:39]
	;; [unrolled: 1-line block ×3, first 2 shown]
	v_add_f64 v[2:3], v[2:3], v[38:39]
	v_add_f64 v[38:39], v[60:61], -v[64:65]
	v_fma_f64 v[26:27], v[26:27], -0.5, v[14:15]
	v_add_f64 v[20:21], v[20:21], v[24:25]
	v_add_f64 v[36:37], v[28:29], v[36:37]
	v_fma_f64 v[14:15], v[22:23], s[2:3], v[26:27]
	v_fma_f64 v[22:23], v[22:23], s[14:15], v[26:27]
	v_add_f64 v[26:27], v[70:71], -v[66:67]
	v_fma_f64 v[14:15], v[18:19], s[8:9], v[14:15]
	v_fma_f64 v[18:19], v[18:19], s[6:7], v[22:23]
	v_add_f64 v[22:23], v[72:73], v[60:61]
	v_fma_f64 v[14:15], v[20:21], s[4:5], v[14:15]
	v_fma_f64 v[18:19], v[20:21], s[4:5], v[18:19]
	v_fma_f64 v[22:23], v[22:23], -0.5, v[32:33]
	v_add_f64 v[20:21], v[32:33], v[68:69]
	v_fma_f64 v[24:25], v[26:27], s[2:3], v[22:23]
	v_fma_f64 v[22:23], v[26:27], s[14:15], v[22:23]
	v_add_f64 v[20:21], v[20:21], v[72:73]
	v_fma_f64 v[24:25], v[30:31], s[6:7], v[24:25]
	v_fma_f64 v[22:23], v[30:31], s[8:9], v[22:23]
	v_add_f64 v[20:21], v[20:21], v[60:61]
	v_add_f64 v[60:61], v[72:73], -v[60:61]
	v_fma_f64 v[28:29], v[36:37], s[4:5], v[24:25]
	v_fma_f64 v[24:25], v[36:37], s[4:5], v[22:23]
	v_add_f64 v[22:23], v[68:69], v[64:65]
	v_add_f64 v[36:37], v[72:73], -v[68:69]
	v_add_f64 v[20:21], v[20:21], v[64:65]
	v_add_f64 v[72:73], v[44:45], -v[40:41]
	v_fma_f64 v[22:23], v[22:23], -0.5, v[32:33]
	v_add_f64 v[36:37], v[36:37], v[38:39]
	v_add_f64 v[38:39], v[68:69], -v[64:65]
	v_add_f64 v[64:65], v[70:71], -v[74:75]
	;; [unrolled: 1-line block ×3, first 2 shown]
	v_fma_f64 v[32:33], v[30:31], s[14:15], v[22:23]
	v_fma_f64 v[22:23], v[30:31], s[2:3], v[22:23]
	v_add_f64 v[64:65], v[64:65], v[68:69]
	v_add_f64 v[68:69], v[74:75], -v[70:71]
	v_fma_f64 v[32:33], v[26:27], s[6:7], v[32:33]
	v_fma_f64 v[22:23], v[26:27], s[8:9], v[22:23]
	v_add_f64 v[26:27], v[74:75], v[62:63]
	v_fma_f64 v[32:33], v[36:37], s[4:5], v[32:33]
	v_fma_f64 v[36:37], v[36:37], s[4:5], v[22:23]
	v_fma_f64 v[26:27], v[26:27], -0.5, v[34:35]
	v_add_f64 v[22:23], v[34:35], v[70:71]
	v_fma_f64 v[30:31], v[38:39], s[14:15], v[26:27]
	v_fma_f64 v[26:27], v[38:39], s[2:3], v[26:27]
	v_add_f64 v[22:23], v[22:23], v[74:75]
	v_add_f64 v[74:75], v[40:41], -v[44:45]
	v_fma_f64 v[30:31], v[60:61], s[8:9], v[30:31]
	v_fma_f64 v[26:27], v[60:61], s[6:7], v[26:27]
	v_add_f64 v[22:23], v[22:23], v[62:63]
	v_add_f64 v[62:63], v[62:63], -v[66:67]
	v_fma_f64 v[30:31], v[64:65], s[4:5], v[30:31]
	v_fma_f64 v[26:27], v[64:65], s[4:5], v[26:27]
	v_add_f64 v[64:65], v[70:71], v[66:67]
	v_add_f64 v[62:63], v[68:69], v[62:63]
	;; [unrolled: 1-line block ×3, first 2 shown]
	v_add_f64 v[66:67], v[50:51], -v[46:47]
	v_add_f64 v[70:71], v[54:55], -v[42:43]
	;; [unrolled: 1-line block ×3, first 2 shown]
	v_fma_f64 v[64:65], v[64:65], -0.5, v[34:35]
	v_add_f64 v[72:73], v[68:69], v[72:73]
	v_fma_f64 v[34:35], v[60:61], s[2:3], v[64:65]
	v_fma_f64 v[60:61], v[60:61], s[14:15], v[64:65]
	;; [unrolled: 1-line block ×4, first 2 shown]
	v_add_f64 v[60:61], v[56:57], v[48:49]
	v_fma_f64 v[34:35], v[62:63], s[4:5], v[34:35]
	v_fma_f64 v[38:39], v[62:63], s[4:5], v[38:39]
	v_add_f64 v[62:63], v[52:53], v[40:41]
	v_add_f64 v[60:61], v[60:61], v[52:53]
	v_fma_f64 v[62:63], v[62:63], -0.5, v[56:57]
	v_add_f64 v[60:61], v[60:61], v[40:41]
	v_add_f64 v[40:41], v[52:53], -v[40:41]
	v_fma_f64 v[64:65], v[66:67], s[2:3], v[62:63]
	v_fma_f64 v[62:63], v[66:67], s[14:15], v[62:63]
	v_add_f64 v[60:61], v[60:61], v[44:45]
	v_fma_f64 v[64:65], v[70:71], s[6:7], v[64:65]
	v_fma_f64 v[62:63], v[70:71], s[8:9], v[62:63]
	;; [unrolled: 1-line block ×4, first 2 shown]
	v_add_f64 v[62:63], v[48:49], v[44:45]
	v_add_f64 v[44:45], v[48:49], -v[44:45]
	v_add_f64 v[72:73], v[52:53], -v[48:49]
	;; [unrolled: 1-line block ×3, first 2 shown]
	v_fma_f64 v[62:63], v[62:63], -0.5, v[56:57]
	v_add_f64 v[72:73], v[72:73], v[74:75]
	v_fma_f64 v[56:57], v[70:71], s[14:15], v[62:63]
	v_fma_f64 v[62:63], v[70:71], s[2:3], v[62:63]
	v_add_f64 v[70:71], v[46:47], -v[42:43]
	v_fma_f64 v[56:57], v[66:67], s[6:7], v[56:57]
	v_fma_f64 v[62:63], v[66:67], s[8:9], v[62:63]
	v_add_f64 v[66:67], v[54:55], v[42:43]
	v_add_f64 v[52:53], v[52:53], v[70:71]
	v_fma_f64 v[56:57], v[72:73], s[4:5], v[56:57]
	v_fma_f64 v[72:73], v[72:73], s[4:5], v[62:63]
	v_fma_f64 v[66:67], v[66:67], -0.5, v[58:59]
	v_add_f64 v[62:63], v[58:59], v[50:51]
	v_fma_f64 v[48:49], v[44:45], s[14:15], v[66:67]
	v_add_f64 v[62:63], v[62:63], v[54:55]
	v_fma_f64 v[48:49], v[40:41], s[8:9], v[48:49]
	v_add_f64 v[62:63], v[62:63], v[42:43]
	v_add_f64 v[42:43], v[42:43], -v[46:47]
	v_fma_f64 v[70:71], v[52:53], s[4:5], v[48:49]
	v_fma_f64 v[48:49], v[44:45], s[2:3], v[66:67]
	v_add_f64 v[62:63], v[62:63], v[46:47]
	v_fma_f64 v[48:49], v[40:41], s[6:7], v[48:49]
	v_fma_f64 v[66:67], v[52:53], s[4:5], v[48:49]
	v_add_f64 v[48:49], v[50:51], v[46:47]
	v_add_f64 v[50:51], v[54:55], -v[50:51]
	v_fma_f64 v[48:49], v[48:49], -0.5, v[58:59]
	v_add_f64 v[42:43], v[50:51], v[42:43]
	v_fma_f64 v[52:53], v[40:41], s[2:3], v[48:49]
	v_fma_f64 v[40:41], v[40:41], s[14:15], v[48:49]
	;; [unrolled: 1-line block ×6, first 2 shown]
	v_mul_lo_u16 v40, v88, 5
	v_lshlrev_b32_sdwa v40, v96, v40 dst_sel:DWORD dst_unused:UNUSED_PAD src0_sel:DWORD src1_sel:WORD_0
	buffer_store_dword v40, off, s[24:27], 0 offset:388 ; 4-byte Folded Spill
	ds_write_b128 v40, v[0:3]
	ds_write_b128 v40, v[4:7] offset:16
	ds_write_b128 v40, v[12:15] offset:32
	;; [unrolled: 1-line block ×4, first 2 shown]
	v_mul_u32_u24_e32 v0, 5, v89
	v_lshlrev_b32_e32 v0, 4, v0
	buffer_store_dword v0, off, s[24:27], 0 offset:384 ; 4-byte Folded Spill
	ds_write_b128 v0, v[20:23]
	ds_write_b128 v0, v[28:31] offset:16
	ds_write_b128 v0, v[32:35] offset:32
	;; [unrolled: 1-line block ×4, first 2 shown]
	v_mul_u32_u24_e32 v0, 5, v90
	v_lshlrev_b32_e32 v0, 4, v0
	buffer_store_dword v0, off, s[24:27], 0 offset:376 ; 4-byte Folded Spill
	ds_write_b128 v0, v[60:63]
	ds_write_b128 v0, v[68:71] offset:16
	ds_write_b128 v0, v[56:59] offset:32
	;; [unrolled: 1-line block ×4, first 2 shown]
	v_and_b32_e32 v68, 0xff, v88
	s_waitcnt lgkmcnt(0)
	s_waitcnt_vscnt null, 0x0
	s_barrier
	buffer_gl0_inv
	ds_read_b128 v[8:11], v76
	ds_read_b128 v[44:47], v76 offset:10800
	ds_read_b128 v[48:51], v76 offset:21600
	;; [unrolled: 1-line block ×14, first 2 shown]
	v_mul_lo_u16 v52, 0xcd, v68
	v_lshrrev_b16 v69, 10, v52
	v_mul_lo_u16 v52, v69, 5
	v_sub_nc_u16 v52, v88, v52
	v_and_b32_e32 v70, 0xff, v52
	v_lshlrev_b32_e32 v52, 6, v70
	s_clause 0x3
	global_load_dwordx4 v[71:74], v52, s[10:11] offset:48
	global_load_dwordx4 v[80:83], v52, s[10:11] offset:32
	;; [unrolled: 1-line block ×3, first 2 shown]
	global_load_dwordx4 v[91:94], v52, s[10:11]
	s_waitcnt vmcnt(0)
	buffer_store_dword v91, off, s[24:27], 0 offset:248 ; 4-byte Folded Spill
	buffer_store_dword v92, off, s[24:27], 0 offset:252 ; 4-byte Folded Spill
	;; [unrolled: 1-line block ×4, first 2 shown]
	s_waitcnt lgkmcnt(13)
	v_mul_f64 v[52:53], v[46:47], v[93:94]
	v_fma_f64 v[52:53], v[44:45], v[91:92], -v[52:53]
	v_mul_f64 v[44:45], v[44:45], v[93:94]
	v_fma_f64 v[44:45], v[46:47], v[91:92], v[44:45]
	v_mov_b32_e32 v94, v57
	v_mov_b32_e32 v93, v56
	;; [unrolled: 1-line block ×4, first 2 shown]
	buffer_store_dword v91, off, s[24:27], 0 offset:264 ; 4-byte Folded Spill
	buffer_store_dword v92, off, s[24:27], 0 offset:268 ; 4-byte Folded Spill
	;; [unrolled: 1-line block ×12, first 2 shown]
	s_waitcnt lgkmcnt(12)
	v_mul_f64 v[46:47], v[50:51], v[93:94]
	v_fma_f64 v[54:55], v[48:49], v[91:92], -v[46:47]
	v_mul_f64 v[46:47], v[48:49], v[93:94]
	s_waitcnt lgkmcnt(11)
	v_mul_f64 v[48:49], v[60:61], v[82:83]
	v_fma_f64 v[46:47], v[50:51], v[91:92], v[46:47]
	s_waitcnt lgkmcnt(10)
	v_mul_f64 v[50:51], v[64:65], v[73:74]
	v_fma_f64 v[56:57], v[58:59], v[80:81], -v[48:49]
	v_mul_f64 v[48:49], v[58:59], v[82:83]
	v_fma_f64 v[58:59], v[62:63], v[71:72], -v[50:51]
	v_mul_f64 v[50:51], v[62:63], v[73:74]
	v_mov_b32_e32 v62, 0xcccd
	v_fma_f64 v[48:49], v[60:61], v[80:81], v[48:49]
	v_mul_u32_u24_sdwa v60, v89, v62 dst_sel:DWORD dst_unused:UNUSED_PAD src0_sel:WORD_0 src1_sel:DWORD
	v_fma_f64 v[50:51], v[64:65], v[71:72], v[50:51]
	v_lshrrev_b32_e32 v71, 18, v60
	v_mul_lo_u16 v60, v71, 5
	v_sub_nc_u16 v72, v89, v60
	v_lshlrev_b16 v60, 2, v72
	v_lshlrev_b32_sdwa v60, v96, v60 dst_sel:DWORD dst_unused:UNUSED_PAD src0_sel:DWORD src1_sel:WORD_0
	s_clause 0x3
	global_load_dwordx4 v[63:66], v60, s[10:11] offset:48
	global_load_dwordx4 v[80:83], v60, s[10:11] offset:32
	;; [unrolled: 1-line block ×3, first 2 shown]
	global_load_dwordx4 v[91:94], v60, s[10:11]
	s_waitcnt vmcnt(1)
	buffer_store_dword v97, off, s[24:27], 0 offset:412 ; 4-byte Folded Spill
	buffer_store_dword v98, off, s[24:27], 0 offset:416 ; 4-byte Folded Spill
	buffer_store_dword v99, off, s[24:27], 0 offset:420 ; 4-byte Folded Spill
	buffer_store_dword v100, off, s[24:27], 0 offset:424 ; 4-byte Folded Spill
	buffer_store_dword v80, off, s[24:27], 0 offset:396 ; 4-byte Folded Spill
	buffer_store_dword v81, off, s[24:27], 0 offset:400 ; 4-byte Folded Spill
	buffer_store_dword v82, off, s[24:27], 0 offset:404 ; 4-byte Folded Spill
	buffer_store_dword v83, off, s[24:27], 0 offset:408 ; 4-byte Folded Spill
	buffer_store_dword v63, off, s[24:27], 0 offset:428 ; 4-byte Folded Spill
	buffer_store_dword v64, off, s[24:27], 0 offset:432 ; 4-byte Folded Spill
	buffer_store_dword v65, off, s[24:27], 0 offset:436 ; 4-byte Folded Spill
	buffer_store_dword v66, off, s[24:27], 0 offset:440 ; 4-byte Folded Spill
	s_waitcnt vmcnt(0) lgkmcnt(8)
	v_mul_f64 v[60:61], v[42:43], v[93:94]
	v_fma_f64 v[60:61], v[40:41], v[91:92], -v[60:61]
	v_mul_f64 v[40:41], v[40:41], v[93:94]
	v_fma_f64 v[40:41], v[42:43], v[91:92], v[40:41]
	s_waitcnt lgkmcnt(7)
	v_mul_f64 v[42:43], v[38:39], v[99:100]
	v_fma_f64 v[42:43], v[36:37], v[97:98], -v[42:43]
	v_mul_f64 v[36:37], v[36:37], v[99:100]
	v_fma_f64 v[36:37], v[38:39], v[97:98], v[36:37]
	s_waitcnt lgkmcnt(6)
	;; [unrolled: 5-line block ×3, first 2 shown]
	v_mul_f64 v[34:35], v[30:31], v[65:66]
	v_fma_f64 v[34:35], v[28:29], v[63:64], -v[34:35]
	v_mul_f64 v[28:29], v[28:29], v[65:66]
	v_fma_f64 v[28:29], v[30:31], v[63:64], v[28:29]
	v_mul_u32_u24_sdwa v30, v90, v62 dst_sel:DWORD dst_unused:UNUSED_PAD src0_sel:WORD_0 src1_sel:DWORD
	v_lshrrev_b32_e32 v73, 18, v30
	v_mul_lo_u16 v30, v73, 5
	v_sub_nc_u16 v74, v90, v30
	v_lshlrev_b16 v30, 2, v74
	v_lshlrev_b32_sdwa v30, v96, v30 dst_sel:DWORD dst_unused:UNUSED_PAD src0_sel:DWORD src1_sel:WORD_0
	s_clause 0x3
	global_load_dwordx4 v[124:127], v30, s[10:11] offset:48
	global_load_dwordx4 v[128:131], v30, s[10:11] offset:32
	;; [unrolled: 1-line block ×3, first 2 shown]
	global_load_dwordx4 v[136:139], v30, s[10:11]
	s_waitcnt vmcnt(0) lgkmcnt(0)
	s_waitcnt_vscnt null, 0x0
	s_barrier
	buffer_gl0_inv
	v_mul_f64 v[30:31], v[26:27], v[138:139]
	v_fma_f64 v[80:81], v[24:25], v[136:137], -v[30:31]
	v_mul_f64 v[24:25], v[24:25], v[138:139]
	v_fma_f64 v[30:31], v[26:27], v[136:137], v[24:25]
	v_mul_f64 v[24:25], v[22:23], v[134:135]
	v_add_f64 v[26:27], v[56:57], -v[58:59]
	v_fma_f64 v[82:83], v[20:21], v[132:133], -v[24:25]
	v_mul_f64 v[20:21], v[20:21], v[134:135]
	v_add_f64 v[24:25], v[58:59], -v[56:57]
	v_fma_f64 v[64:65], v[22:23], v[132:133], v[20:21]
	v_mul_f64 v[20:21], v[18:19], v[130:131]
	v_add_f64 v[22:23], v[46:47], -v[48:49]
	v_fma_f64 v[84:85], v[16:17], v[128:129], -v[20:21]
	v_mul_f64 v[16:17], v[16:17], v[130:131]
	v_add_f64 v[20:21], v[52:53], -v[54:55]
	v_fma_f64 v[62:63], v[18:19], v[128:129], v[16:17]
	v_mul_f64 v[16:17], v[14:15], v[126:127]
	v_add_f64 v[18:19], v[44:45], -v[50:51]
	v_add_f64 v[24:25], v[20:21], v[24:25]
	v_fma_f64 v[97:98], v[12:13], v[124:125], -v[16:17]
	v_mul_f64 v[12:13], v[12:13], v[126:127]
	v_fma_f64 v[66:67], v[14:15], v[124:125], v[12:13]
	v_add_f64 v[14:15], v[54:55], v[56:57]
	v_add_f64 v[12:13], v[8:9], v[52:53]
	v_fma_f64 v[14:15], v[14:15], -0.5, v[8:9]
	v_add_f64 v[12:13], v[12:13], v[54:55]
	v_fma_f64 v[16:17], v[18:19], s[2:3], v[14:15]
	v_fma_f64 v[14:15], v[18:19], s[14:15], v[14:15]
	v_add_f64 v[12:13], v[12:13], v[56:57]
	v_fma_f64 v[16:17], v[22:23], s[6:7], v[16:17]
	v_fma_f64 v[14:15], v[22:23], s[8:9], v[14:15]
	;; [unrolled: 3-line block ×3, first 2 shown]
	v_add_f64 v[14:15], v[52:53], v[58:59]
	v_add_f64 v[24:25], v[54:55], -v[52:53]
	v_fma_f64 v[14:15], v[14:15], -0.5, v[8:9]
	v_add_f64 v[24:25], v[24:25], v[26:27]
	v_add_f64 v[26:27], v[52:53], -v[58:59]
	v_add_f64 v[52:53], v[54:55], -v[56:57]
	;; [unrolled: 1-line block ×5, first 2 shown]
	v_fma_f64 v[8:9], v[22:23], s[14:15], v[14:15]
	v_fma_f64 v[14:15], v[22:23], s[2:3], v[14:15]
	v_add_f64 v[54:55], v[54:55], v[56:57]
	v_add_f64 v[56:57], v[34:35], -v[38:39]
	v_fma_f64 v[8:9], v[18:19], s[6:7], v[8:9]
	v_fma_f64 v[14:15], v[18:19], s[8:9], v[14:15]
	v_add_f64 v[18:19], v[46:47], v[48:49]
	v_fma_f64 v[8:9], v[24:25], s[4:5], v[8:9]
	v_fma_f64 v[24:25], v[24:25], s[4:5], v[14:15]
	v_fma_f64 v[18:19], v[18:19], -0.5, v[10:11]
	v_add_f64 v[14:15], v[10:11], v[44:45]
	v_fma_f64 v[22:23], v[26:27], s[14:15], v[18:19]
	v_fma_f64 v[18:19], v[26:27], s[2:3], v[18:19]
	v_add_f64 v[14:15], v[14:15], v[46:47]
	v_fma_f64 v[22:23], v[52:53], s[8:9], v[22:23]
	v_fma_f64 v[18:19], v[52:53], s[6:7], v[18:19]
	;; [unrolled: 3-line block ×3, first 2 shown]
	v_add_f64 v[54:55], v[44:45], v[50:51]
	v_add_f64 v[44:45], v[46:47], -v[44:45]
	v_add_f64 v[46:47], v[48:49], -v[50:51]
	v_add_f64 v[14:15], v[14:15], v[50:51]
	v_add_f64 v[50:51], v[40:41], -v[28:29]
	v_fma_f64 v[54:55], v[54:55], -0.5, v[10:11]
	v_add_f64 v[44:45], v[44:45], v[46:47]
	v_fma_f64 v[10:11], v[52:53], s[2:3], v[54:55]
	v_fma_f64 v[46:47], v[52:53], s[14:15], v[54:55]
	v_add_f64 v[54:55], v[36:37], -v[32:33]
	v_add_f64 v[52:53], v[60:61], -v[42:43]
	v_fma_f64 v[10:11], v[26:27], s[8:9], v[10:11]
	v_fma_f64 v[26:27], v[26:27], s[6:7], v[46:47]
	v_add_f64 v[46:47], v[42:43], v[38:39]
	v_add_f64 v[52:53], v[52:53], v[56:57]
	v_add_f64 v[56:57], v[42:43], -v[60:61]
	v_fma_f64 v[10:11], v[44:45], s[4:5], v[10:11]
	v_fma_f64 v[26:27], v[44:45], s[4:5], v[26:27]
	v_fma_f64 v[46:47], v[46:47], -0.5, v[4:5]
	v_add_f64 v[44:45], v[4:5], v[60:61]
	v_add_f64 v[56:57], v[56:57], v[58:59]
	v_add_f64 v[58:59], v[28:29], -v[32:33]
	v_fma_f64 v[48:49], v[50:51], s[2:3], v[46:47]
	v_fma_f64 v[46:47], v[50:51], s[14:15], v[46:47]
	v_add_f64 v[44:45], v[44:45], v[42:43]
	v_fma_f64 v[48:49], v[54:55], s[6:7], v[48:49]
	v_fma_f64 v[46:47], v[54:55], s[8:9], v[46:47]
	v_add_f64 v[44:45], v[44:45], v[38:39]
	v_add_f64 v[38:39], v[42:43], -v[38:39]
	v_fma_f64 v[48:49], v[52:53], s[4:5], v[48:49]
	v_fma_f64 v[52:53], v[52:53], s[4:5], v[46:47]
	v_add_f64 v[46:47], v[60:61], v[34:35]
	v_add_f64 v[44:45], v[44:45], v[34:35]
	v_add_f64 v[34:35], v[60:61], -v[34:35]
	v_add_f64 v[60:61], v[84:85], -v[97:98]
	v_fma_f64 v[46:47], v[46:47], -0.5, v[4:5]
	v_fma_f64 v[4:5], v[54:55], s[14:15], v[46:47]
	v_fma_f64 v[46:47], v[54:55], s[2:3], v[46:47]
	;; [unrolled: 1-line block ×4, first 2 shown]
	v_add_f64 v[50:51], v[36:37], v[32:33]
	v_fma_f64 v[4:5], v[56:57], s[4:5], v[4:5]
	v_fma_f64 v[56:57], v[56:57], s[4:5], v[46:47]
	v_fma_f64 v[54:55], v[50:51], -0.5, v[6:7]
	v_add_f64 v[46:47], v[6:7], v[40:41]
	v_fma_f64 v[50:51], v[34:35], s[14:15], v[54:55]
	v_add_f64 v[46:47], v[46:47], v[36:37]
	v_fma_f64 v[42:43], v[38:39], s[8:9], v[50:51]
	v_add_f64 v[50:51], v[40:41], -v[36:37]
	v_add_f64 v[46:47], v[46:47], v[32:33]
	v_add_f64 v[36:37], v[36:37], -v[40:41]
	v_add_f64 v[58:59], v[50:51], v[58:59]
	v_add_f64 v[46:47], v[46:47], v[28:29]
	v_fma_f64 v[50:51], v[58:59], s[4:5], v[42:43]
	v_fma_f64 v[42:43], v[34:35], s[2:3], v[54:55]
	;; [unrolled: 1-line block ×4, first 2 shown]
	v_add_f64 v[42:43], v[40:41], v[28:29]
	v_add_f64 v[28:29], v[32:33], -v[28:29]
	v_add_f64 v[40:41], v[80:81], -v[82:83]
	v_fma_f64 v[42:43], v[42:43], -0.5, v[6:7]
	v_add_f64 v[28:29], v[36:37], v[28:29]
	v_fma_f64 v[6:7], v[38:39], s[2:3], v[42:43]
	v_fma_f64 v[32:33], v[38:39], s[14:15], v[42:43]
	v_add_f64 v[38:39], v[64:65], -v[62:63]
	v_add_f64 v[42:43], v[97:98], -v[84:85]
	v_fma_f64 v[6:7], v[34:35], s[8:9], v[6:7]
	v_fma_f64 v[32:33], v[34:35], s[6:7], v[32:33]
	v_add_f64 v[34:35], v[30:31], -v[66:67]
	v_add_f64 v[40:41], v[40:41], v[42:43]
	v_add_f64 v[42:43], v[82:83], -v[80:81]
	v_fma_f64 v[6:7], v[28:29], s[4:5], v[6:7]
	v_fma_f64 v[58:59], v[28:29], s[4:5], v[32:33]
	v_add_f64 v[28:29], v[0:1], v[80:81]
	v_add_f64 v[42:43], v[42:43], v[60:61]
	v_add_f64 v[60:61], v[80:81], -v[97:98]
	v_add_f64 v[28:29], v[28:29], v[82:83]
	v_add_f64 v[28:29], v[28:29], v[84:85]
	;; [unrolled: 1-line block ×4, first 2 shown]
	v_fma_f64 v[28:29], v[28:29], -0.5, v[0:1]
	v_fma_f64 v[36:37], v[34:35], s[2:3], v[28:29]
	v_fma_f64 v[28:29], v[34:35], s[14:15], v[28:29]
	;; [unrolled: 1-line block ×6, first 2 shown]
	v_add_f64 v[28:29], v[80:81], v[97:98]
	v_add_f64 v[80:81], v[82:83], -v[84:85]
	v_add_f64 v[82:83], v[30:31], -v[64:65]
	;; [unrolled: 1-line block ×3, first 2 shown]
	v_fma_f64 v[28:29], v[28:29], -0.5, v[0:1]
	v_add_f64 v[82:83], v[82:83], v[84:85]
	v_fma_f64 v[0:1], v[38:39], s[14:15], v[28:29]
	v_fma_f64 v[28:29], v[38:39], s[2:3], v[28:29]
	v_add_f64 v[38:39], v[64:65], v[62:63]
	v_fma_f64 v[0:1], v[34:35], s[6:7], v[0:1]
	v_fma_f64 v[28:29], v[34:35], s[8:9], v[28:29]
	;; [unrolled: 3-line block ×3, first 2 shown]
	v_fma_f64 v[42:43], v[38:39], -0.5, v[2:3]
	v_add_f64 v[34:35], v[34:35], v[64:65]
	v_fma_f64 v[38:39], v[60:61], s[14:15], v[42:43]
	v_fma_f64 v[42:43], v[60:61], s[2:3], v[42:43]
	v_add_f64 v[34:35], v[34:35], v[62:63]
	v_add_f64 v[62:63], v[62:63], -v[66:67]
	v_fma_f64 v[38:39], v[80:81], s[8:9], v[38:39]
	v_fma_f64 v[42:43], v[80:81], s[6:7], v[42:43]
	v_add_f64 v[34:35], v[34:35], v[66:67]
	v_fma_f64 v[38:39], v[82:83], s[4:5], v[38:39]
	v_fma_f64 v[42:43], v[82:83], s[4:5], v[42:43]
	v_add_f64 v[82:83], v[30:31], v[66:67]
	v_add_f64 v[30:31], v[64:65], -v[30:31]
	v_fma_f64 v[82:83], v[82:83], -0.5, v[2:3]
	v_add_f64 v[30:31], v[30:31], v[62:63]
	v_fma_f64 v[2:3], v[80:81], s[2:3], v[82:83]
	v_fma_f64 v[62:63], v[80:81], s[14:15], v[82:83]
	;; [unrolled: 1-line block ×6, first 2 shown]
	v_mov_b32_e32 v60, 25
	v_mul_u32_u24_sdwa v60, v69, v60 dst_sel:DWORD dst_unused:UNUSED_PAD src0_sel:WORD_0 src1_sel:DWORD
	v_add_lshl_u32 v60, v60, v70, 4
	buffer_store_dword v60, off, s[24:27], 0 offset:444 ; 4-byte Folded Spill
	ds_write_b128 v60, v[12:15]
	ds_write_b128 v60, v[20:23] offset:80
	ds_write_b128 v60, v[8:11] offset:160
	;; [unrolled: 1-line block ×4, first 2 shown]
	v_mad_u16 v8, v71, 25, v72
	v_lshlrev_b32_sdwa v8, v96, v8 dst_sel:DWORD dst_unused:UNUSED_PAD src0_sel:DWORD src1_sel:WORD_0
	buffer_store_dword v8, off, s[24:27], 0 offset:392 ; 4-byte Folded Spill
	ds_write_b128 v8, v[44:47]
	ds_write_b128 v8, v[48:51] offset:80
	ds_write_b128 v8, v[4:7] offset:160
	;; [unrolled: 1-line block ×4, first 2 shown]
	v_mul_lo_u16 v44, v68, 41
	v_mad_u16 v4, v73, 25, v74
	v_lshrrev_b16 v77, 10, v44
	v_lshlrev_b32_sdwa v4, v96, v4 dst_sel:DWORD dst_unused:UNUSED_PAD src0_sel:DWORD src1_sel:WORD_0
	v_mul_lo_u16 v44, v77, 25
	buffer_store_dword v4, off, s[24:27], 0 offset:380 ; 4-byte Folded Spill
	ds_write_b128 v4, v[32:35]
	ds_write_b128 v4, v[36:39] offset:80
	ds_write_b128 v4, v[0:3] offset:160
	;; [unrolled: 1-line block ×4, first 2 shown]
	s_waitcnt lgkmcnt(0)
	s_waitcnt_vscnt null, 0x0
	s_barrier
	v_sub_nc_u16 v44, v88, v44
	buffer_gl0_inv
	ds_read_b128 v[8:11], v76
	ds_read_b128 v[36:39], v76 offset:10800
	ds_read_b128 v[40:43], v76 offset:21600
	ds_read_b128 v[50:53], v76 offset:32400
	ds_read_b128 v[54:57], v76 offset:43200
	ds_read_b128 v[4:7], v76 offset:3600
	ds_read_b128 v[32:35], v76 offset:14400
	ds_read_b128 v[28:31], v76 offset:25200
	ds_read_b128 v[24:27], v76 offset:36000
	ds_read_b128 v[20:23], v76 offset:46800
	ds_read_b128 v[0:3], v76 offset:7200
	ds_read_b128 v[160:163], v76 offset:18000
	ds_read_b128 v[156:159], v76 offset:28800
	ds_read_b128 v[16:19], v76 offset:39600
	ds_read_b128 v[12:15], v76 offset:50400
	v_and_b32_e32 v97, 0xff, v44
	v_lshlrev_b32_e32 v44, 6, v97
	s_clause 0x3
	global_load_dwordx4 v[58:61], v44, s[10:11] offset:368
	global_load_dwordx4 v[62:65], v44, s[10:11] offset:352
	;; [unrolled: 1-line block ×4, first 2 shown]
	s_waitcnt vmcnt(0)
	buffer_store_dword v66, off, s[24:27], 0 offset:328 ; 4-byte Folded Spill
	buffer_store_dword v67, off, s[24:27], 0 offset:332 ; 4-byte Folded Spill
	;; [unrolled: 1-line block ×4, first 2 shown]
	s_waitcnt lgkmcnt(13)
	v_mul_f64 v[44:45], v[38:39], v[68:69]
	v_fma_f64 v[44:45], v[36:37], v[66:67], -v[44:45]
	v_mul_f64 v[36:37], v[36:37], v[68:69]
	v_fma_f64 v[36:37], v[38:39], v[66:67], v[36:37]
	v_mov_b32_e32 v69, v49
	v_mov_b32_e32 v68, v48
	v_mov_b32_e32 v67, v47
	v_mov_b32_e32 v66, v46
	buffer_store_dword v66, off, s[24:27], 0 offset:312 ; 4-byte Folded Spill
	buffer_store_dword v67, off, s[24:27], 0 offset:316 ; 4-byte Folded Spill
	;; [unrolled: 1-line block ×12, first 2 shown]
	s_waitcnt lgkmcnt(12)
	v_mul_f64 v[38:39], v[42:43], v[68:69]
	v_fma_f64 v[46:47], v[40:41], v[66:67], -v[38:39]
	v_mul_f64 v[38:39], v[40:41], v[68:69]
	v_fma_f64 v[40:41], v[42:43], v[66:67], v[38:39]
	s_waitcnt lgkmcnt(11)
	v_mul_f64 v[38:39], v[52:53], v[64:65]
	s_waitcnt lgkmcnt(10)
	v_mul_f64 v[42:43], v[56:57], v[60:61]
	v_fma_f64 v[48:49], v[50:51], v[62:63], -v[38:39]
	v_mul_f64 v[38:39], v[50:51], v[64:65]
	v_fma_f64 v[50:51], v[54:55], v[58:59], -v[42:43]
	v_mul_f64 v[42:43], v[54:55], v[60:61]
	v_mov_b32_e32 v60, 0x47af
	v_fma_f64 v[38:39], v[52:53], v[62:63], v[38:39]
	v_mul_u32_u24_sdwa v52, v89, v60 dst_sel:DWORD dst_unused:UNUSED_PAD src0_sel:WORD_0 src1_sel:DWORD
	v_fma_f64 v[42:43], v[56:57], v[58:59], v[42:43]
	v_lshrrev_b32_e32 v52, 16, v52
	v_sub_nc_u16 v53, v89, v52
	v_lshrrev_b16 v53, 1, v53
	v_add_nc_u16 v52, v53, v52
	v_lshrrev_b16 v98, 4, v52
	v_mul_lo_u16 v52, v98, 25
	v_sub_nc_u16 v99, v89, v52
	v_lshlrev_b16 v52, 6, v99
	v_and_b32_e32 v52, 0xffff, v52
	v_add_co_u32 v52, s16, s10, v52
	v_add_co_ci_u32_e64 v53, null, s11, 0, s16
	s_clause 0x3
	global_load_dwordx4 v[108:111], v[52:53], off offset:368
	global_load_dwordx4 v[112:115], v[52:53], off offset:352
	;; [unrolled: 1-line block ×4, first 2 shown]
	s_waitcnt vmcnt(0) lgkmcnt(8)
	v_mul_f64 v[52:53], v[34:35], v[122:123]
	v_fma_f64 v[68:69], v[32:33], v[120:121], -v[52:53]
	v_mul_f64 v[32:33], v[32:33], v[122:123]
	v_fma_f64 v[52:53], v[34:35], v[120:121], v[32:33]
	s_waitcnt lgkmcnt(7)
	v_mul_f64 v[32:33], v[30:31], v[118:119]
	v_fma_f64 v[34:35], v[28:29], v[116:117], -v[32:33]
	v_mul_f64 v[28:29], v[28:29], v[118:119]
	v_add_f64 v[32:33], v[42:43], -v[38:39]
	v_fma_f64 v[56:57], v[30:31], v[116:117], v[28:29]
	s_waitcnt lgkmcnt(6)
	v_mul_f64 v[28:29], v[26:27], v[114:115]
	v_add_f64 v[30:31], v[36:37], -v[40:41]
	v_fma_f64 v[70:71], v[24:25], v[112:113], -v[28:29]
	v_mul_f64 v[24:25], v[24:25], v[114:115]
	v_add_f64 v[28:29], v[46:47], -v[48:49]
	v_add_f64 v[30:31], v[30:31], v[32:33]
	v_add_f64 v[32:33], v[40:41], -v[36:37]
	v_fma_f64 v[54:55], v[26:27], v[112:113], v[24:25]
	s_waitcnt lgkmcnt(5)
	v_mul_f64 v[24:25], v[22:23], v[110:111]
	v_add_f64 v[26:27], v[48:49], -v[50:51]
	v_fma_f64 v[72:73], v[20:21], v[108:109], -v[24:25]
	v_mul_f64 v[20:21], v[20:21], v[110:111]
	v_add_f64 v[24:25], v[50:51], -v[48:49]
	v_fma_f64 v[58:59], v[22:23], v[108:109], v[20:21]
	v_mul_u32_u24_sdwa v20, v90, v60 dst_sel:DWORD dst_unused:UNUSED_PAD src0_sel:WORD_0 src1_sel:DWORD
	v_add_f64 v[22:23], v[40:41], -v[38:39]
	v_lshrrev_b32_e32 v20, 16, v20
	v_sub_nc_u16 v21, v90, v20
	v_lshrrev_b16 v21, 1, v21
	v_add_nc_u16 v20, v21, v20
	v_lshrrev_b16 v100, 4, v20
	v_mul_lo_u16 v20, v100, 25
	v_sub_nc_u16 v101, v90, v20
	v_lshlrev_b16 v20, 6, v101
	v_and_b32_e32 v20, 0xffff, v20
	v_add_co_u32 v20, s16, s10, v20
	v_add_co_ci_u32_e64 v21, null, s11, 0, s16
	s_clause 0x3
	global_load_dwordx4 v[140:143], v[20:21], off offset:368
	global_load_dwordx4 v[144:147], v[20:21], off offset:352
	;; [unrolled: 1-line block ×4, first 2 shown]
	s_waitcnt vmcnt(0) lgkmcnt(0)
	s_waitcnt_vscnt null, 0x0
	s_barrier
	buffer_gl0_inv
	v_mul_f64 v[20:21], v[162:163], v[154:155]
	v_fma_f64 v[74:75], v[160:161], v[152:153], -v[20:21]
	v_mul_f64 v[20:21], v[160:161], v[154:155]
	v_fma_f64 v[60:61], v[162:163], v[152:153], v[20:21]
	v_mul_f64 v[20:21], v[158:159], v[150:151]
	v_fma_f64 v[80:81], v[156:157], v[148:149], -v[20:21]
	v_mul_f64 v[20:21], v[156:157], v[150:151]
	v_fma_f64 v[64:65], v[158:159], v[148:149], v[20:21]
	v_mul_f64 v[20:21], v[18:19], v[146:147]
	v_fma_f64 v[82:83], v[16:17], v[144:145], -v[20:21]
	v_mul_f64 v[16:17], v[16:17], v[146:147]
	v_add_f64 v[20:21], v[44:45], -v[46:47]
	v_fma_f64 v[62:63], v[18:19], v[144:145], v[16:17]
	v_mul_f64 v[16:17], v[14:15], v[142:143]
	v_add_f64 v[18:19], v[36:37], -v[42:43]
	v_add_f64 v[24:25], v[20:21], v[24:25]
	v_fma_f64 v[84:85], v[12:13], v[140:141], -v[16:17]
	v_mul_f64 v[12:13], v[12:13], v[142:143]
	v_fma_f64 v[66:67], v[14:15], v[140:141], v[12:13]
	v_add_f64 v[14:15], v[46:47], v[48:49]
	v_add_f64 v[12:13], v[8:9], v[44:45]
	v_fma_f64 v[14:15], v[14:15], -0.5, v[8:9]
	v_add_f64 v[12:13], v[12:13], v[46:47]
	v_fma_f64 v[16:17], v[18:19], s[2:3], v[14:15]
	v_fma_f64 v[14:15], v[18:19], s[14:15], v[14:15]
	v_add_f64 v[12:13], v[12:13], v[48:49]
	v_add_f64 v[48:49], v[58:59], -v[54:55]
	v_fma_f64 v[16:17], v[22:23], s[6:7], v[16:17]
	v_fma_f64 v[14:15], v[22:23], s[8:9], v[14:15]
	v_add_f64 v[12:13], v[12:13], v[50:51]
	v_fma_f64 v[20:21], v[24:25], s[4:5], v[16:17]
	v_fma_f64 v[16:17], v[24:25], s[4:5], v[14:15]
	v_add_f64 v[14:15], v[44:45], v[50:51]
	v_add_f64 v[24:25], v[46:47], -v[44:45]
	v_add_f64 v[46:47], v[34:35], -v[70:71]
	v_fma_f64 v[14:15], v[14:15], -0.5, v[8:9]
	v_add_f64 v[24:25], v[24:25], v[26:27]
	v_add_f64 v[26:27], v[44:45], -v[50:51]
	v_add_f64 v[44:45], v[70:71], -v[72:73]
	;; [unrolled: 1-line block ×3, first 2 shown]
	v_fma_f64 v[8:9], v[22:23], s[14:15], v[14:15]
	v_fma_f64 v[14:15], v[22:23], s[2:3], v[14:15]
	;; [unrolled: 1-line block ×4, first 2 shown]
	v_add_f64 v[18:19], v[40:41], v[38:39]
	v_fma_f64 v[8:9], v[24:25], s[4:5], v[8:9]
	v_fma_f64 v[24:25], v[24:25], s[4:5], v[14:15]
	v_fma_f64 v[18:19], v[18:19], -0.5, v[10:11]
	v_add_f64 v[14:15], v[10:11], v[36:37]
	v_fma_f64 v[22:23], v[26:27], s[14:15], v[18:19]
	v_fma_f64 v[18:19], v[26:27], s[2:3], v[18:19]
	v_add_f64 v[14:15], v[14:15], v[40:41]
	v_add_f64 v[40:41], v[56:57], -v[54:55]
	v_fma_f64 v[22:23], v[28:29], s[8:9], v[22:23]
	v_fma_f64 v[18:19], v[28:29], s[6:7], v[18:19]
	v_add_f64 v[14:15], v[14:15], v[38:39]
	v_fma_f64 v[22:23], v[30:31], s[4:5], v[22:23]
	v_fma_f64 v[18:19], v[30:31], s[4:5], v[18:19]
	v_add_f64 v[30:31], v[36:37], v[42:43]
	v_add_f64 v[36:37], v[38:39], -v[42:43]
	v_add_f64 v[38:39], v[52:53], -v[58:59]
	v_add_f64 v[14:15], v[14:15], v[42:43]
	v_add_f64 v[42:43], v[72:73], -v[70:71]
	v_fma_f64 v[30:31], v[30:31], -0.5, v[10:11]
	v_add_f64 v[32:33], v[32:33], v[36:37]
	v_add_f64 v[36:37], v[68:69], -v[34:35]
	v_fma_f64 v[10:11], v[28:29], s[2:3], v[30:31]
	v_fma_f64 v[28:29], v[28:29], s[14:15], v[30:31]
	v_add_f64 v[30:31], v[34:35], v[70:71]
	v_add_f64 v[42:43], v[36:37], v[42:43]
	v_fma_f64 v[10:11], v[26:27], s[8:9], v[10:11]
	v_fma_f64 v[26:27], v[26:27], s[6:7], v[28:29]
	v_fma_f64 v[30:31], v[30:31], -0.5, v[4:5]
	v_add_f64 v[28:29], v[4:5], v[68:69]
	v_fma_f64 v[10:11], v[32:33], s[4:5], v[10:11]
	v_fma_f64 v[26:27], v[32:33], s[4:5], v[26:27]
	;; [unrolled: 1-line block ×4, first 2 shown]
	v_add_f64 v[28:29], v[28:29], v[34:35]
	v_fma_f64 v[32:33], v[40:41], s[6:7], v[32:33]
	v_fma_f64 v[30:31], v[40:41], s[8:9], v[30:31]
	v_add_f64 v[28:29], v[28:29], v[70:71]
	v_add_f64 v[70:71], v[60:61], -v[64:65]
	v_fma_f64 v[36:37], v[42:43], s[4:5], v[32:33]
	v_fma_f64 v[32:33], v[42:43], s[4:5], v[30:31]
	v_add_f64 v[30:31], v[68:69], v[72:73]
	v_add_f64 v[42:43], v[34:35], -v[68:69]
	v_add_f64 v[28:29], v[28:29], v[72:73]
	v_fma_f64 v[30:31], v[30:31], -0.5, v[4:5]
	v_add_f64 v[42:43], v[42:43], v[44:45]
	v_add_f64 v[44:45], v[68:69], -v[72:73]
	v_add_f64 v[68:69], v[80:81], -v[82:83]
	;; [unrolled: 1-line block ×3, first 2 shown]
	v_fma_f64 v[4:5], v[40:41], s[14:15], v[30:31]
	v_fma_f64 v[30:31], v[40:41], s[2:3], v[30:31]
	v_add_f64 v[70:71], v[70:71], v[72:73]
	v_fma_f64 v[4:5], v[38:39], s[6:7], v[4:5]
	v_fma_f64 v[30:31], v[38:39], s[8:9], v[30:31]
	v_add_f64 v[38:39], v[56:57], v[54:55]
	v_fma_f64 v[4:5], v[42:43], s[4:5], v[4:5]
	v_fma_f64 v[40:41], v[42:43], s[4:5], v[30:31]
	v_fma_f64 v[42:43], v[38:39], -0.5, v[6:7]
	v_add_f64 v[30:31], v[6:7], v[52:53]
	v_fma_f64 v[38:39], v[44:45], s[14:15], v[42:43]
	v_add_f64 v[30:31], v[30:31], v[56:57]
	v_fma_f64 v[34:35], v[46:47], s[8:9], v[38:39]
	v_add_f64 v[38:39], v[52:53], -v[56:57]
	v_add_f64 v[30:31], v[30:31], v[54:55]
	v_add_f64 v[54:55], v[64:65], -v[62:63]
	v_add_f64 v[48:49], v[38:39], v[48:49]
	v_add_f64 v[30:31], v[30:31], v[58:59]
	v_fma_f64 v[38:39], v[48:49], s[4:5], v[34:35]
	v_fma_f64 v[34:35], v[44:45], s[2:3], v[42:43]
	v_add_f64 v[42:43], v[52:53], v[58:59]
	v_add_f64 v[58:59], v[82:83], -v[84:85]
	v_fma_f64 v[34:35], v[46:47], s[6:7], v[34:35]
	v_fma_f64 v[42:43], v[42:43], -0.5, v[6:7]
	v_fma_f64 v[34:35], v[48:49], s[4:5], v[34:35]
	v_fma_f64 v[6:7], v[46:47], s[2:3], v[42:43]
	v_add_f64 v[48:49], v[56:57], -v[52:53]
	v_fma_f64 v[42:43], v[46:47], s[14:15], v[42:43]
	v_add_f64 v[46:47], v[80:81], v[82:83]
	v_add_f64 v[52:53], v[74:75], -v[80:81]
	v_add_f64 v[56:57], v[84:85], -v[82:83]
	v_fma_f64 v[6:7], v[44:45], s[8:9], v[6:7]
	v_add_f64 v[48:49], v[48:49], v[50:51]
	v_fma_f64 v[42:43], v[44:45], s[6:7], v[42:43]
	v_fma_f64 v[46:47], v[46:47], -0.5, v[0:1]
	v_add_f64 v[50:51], v[60:61], -v[66:67]
	v_add_f64 v[52:53], v[52:53], v[56:57]
	v_add_f64 v[44:45], v[0:1], v[74:75]
	v_add_f64 v[56:57], v[80:81], -v[74:75]
	v_fma_f64 v[6:7], v[48:49], s[4:5], v[6:7]
	v_fma_f64 v[42:43], v[48:49], s[4:5], v[42:43]
	;; [unrolled: 1-line block ×4, first 2 shown]
	v_add_f64 v[44:45], v[44:45], v[80:81]
	v_add_f64 v[56:57], v[56:57], v[58:59]
	v_add_f64 v[58:59], v[74:75], -v[84:85]
	v_fma_f64 v[48:49], v[54:55], s[6:7], v[48:49]
	v_fma_f64 v[46:47], v[54:55], s[8:9], v[46:47]
	v_add_f64 v[44:45], v[44:45], v[82:83]
	v_fma_f64 v[48:49], v[52:53], s[4:5], v[48:49]
	v_fma_f64 v[52:53], v[52:53], s[4:5], v[46:47]
	v_add_f64 v[46:47], v[74:75], v[84:85]
	v_add_f64 v[44:45], v[44:45], v[84:85]
	v_fma_f64 v[46:47], v[46:47], -0.5, v[0:1]
	v_fma_f64 v[0:1], v[54:55], s[14:15], v[46:47]
	v_fma_f64 v[46:47], v[54:55], s[2:3], v[46:47]
	;; [unrolled: 1-line block ×4, first 2 shown]
	v_add_f64 v[50:51], v[64:65], v[62:63]
	v_fma_f64 v[0:1], v[56:57], s[4:5], v[0:1]
	v_fma_f64 v[56:57], v[56:57], s[4:5], v[46:47]
	v_fma_f64 v[54:55], v[50:51], -0.5, v[2:3]
	v_add_f64 v[46:47], v[2:3], v[60:61]
	v_fma_f64 v[50:51], v[58:59], s[14:15], v[54:55]
	v_fma_f64 v[54:55], v[58:59], s[2:3], v[54:55]
	v_add_f64 v[46:47], v[46:47], v[64:65]
	v_fma_f64 v[50:51], v[68:69], s[8:9], v[50:51]
	v_fma_f64 v[54:55], v[68:69], s[6:7], v[54:55]
	v_add_f64 v[46:47], v[46:47], v[62:63]
	v_add_f64 v[62:63], v[62:63], -v[66:67]
	v_fma_f64 v[50:51], v[70:71], s[4:5], v[50:51]
	v_fma_f64 v[54:55], v[70:71], s[4:5], v[54:55]
	v_add_f64 v[70:71], v[60:61], v[66:67]
	v_add_f64 v[60:61], v[64:65], -v[60:61]
	v_add_f64 v[46:47], v[46:47], v[66:67]
	v_fma_f64 v[70:71], v[70:71], -0.5, v[2:3]
	v_add_f64 v[60:61], v[60:61], v[62:63]
	v_fma_f64 v[2:3], v[68:69], s[2:3], v[70:71]
	v_fma_f64 v[62:63], v[68:69], s[14:15], v[70:71]
	;; [unrolled: 1-line block ×6, first 2 shown]
	v_mov_b32_e32 v60, 0x7d
	v_mul_u32_u24_sdwa v60, v77, v60 dst_sel:DWORD dst_unused:UNUSED_PAD src0_sel:WORD_0 src1_sel:DWORD
	v_mov_b32_e32 v77, 0x625
	v_add_lshl_u32 v60, v60, v97, 4
	buffer_store_dword v60, off, s[24:27], 0 offset:460 ; 4-byte Folded Spill
	ds_write_b128 v60, v[12:15]
	ds_write_b128 v60, v[20:23] offset:400
	ds_write_b128 v60, v[8:11] offset:800
	;; [unrolled: 1-line block ×4, first 2 shown]
	v_mad_u16 v8, 0x7d, v98, v99
	v_lshlrev_b32_sdwa v8, v96, v8 dst_sel:DWORD dst_unused:UNUSED_PAD src0_sel:DWORD src1_sel:WORD_0
	buffer_store_dword v8, off, s[24:27], 0 offset:452 ; 4-byte Folded Spill
	ds_write_b128 v8, v[28:31]
	ds_write_b128 v8, v[36:39] offset:400
	ds_write_b128 v8, v[4:7] offset:800
	;; [unrolled: 1-line block ×4, first 2 shown]
	v_mad_u16 v4, 0x7d, v100, v101
	v_lshlrev_b32_sdwa v4, v96, v4 dst_sel:DWORD dst_unused:UNUSED_PAD src0_sel:DWORD src1_sel:WORD_0
	buffer_store_dword v4, off, s[24:27], 0 offset:448 ; 4-byte Folded Spill
	ds_write_b128 v4, v[44:47]
	ds_write_b128 v4, v[48:51] offset:400
	ds_write_b128 v4, v[0:3] offset:800
	;; [unrolled: 1-line block ×4, first 2 shown]
	v_add_co_u32 v44, s16, 0xffffff83, v102
	v_add_co_ci_u32_e64 v45, null, 0, -1, s16
	s_waitcnt lgkmcnt(0)
	s_waitcnt_vscnt null, 0x0
	v_cndmask_b32_e32 v44, v44, v102, vcc_lo
	s_barrier
	v_cndmask_b32_e64 v45, v45, 0, vcc_lo
	buffer_gl0_inv
	ds_read_b128 v[16:19], v76
	ds_read_b128 v[46:49], v76 offset:18000
	ds_read_b128 v[50:53], v76 offset:36000
	;; [unrolled: 1-line block ×14, first 2 shown]
	v_lshlrev_b64 v[62:63], 5, v[44:45]
	v_add_co_u32 v62, vcc_lo, s10, v62
	v_add_co_ci_u32_e32 v63, vcc_lo, s11, v63, vcc_lo
	s_clause 0x1
	global_load_dwordx4 v[156:159], v[62:63], off offset:1936
	global_load_dwordx4 v[160:163], v[62:63], off offset:1920
	v_cmp_lt_u16_e32 vcc_lo, 0x7c, v88
	s_waitcnt vmcnt(0) lgkmcnt(13)
	v_mul_f64 v[62:63], v[48:49], v[162:163]
	v_fma_f64 v[62:63], v[46:47], v[160:161], -v[62:63]
	v_mul_f64 v[45:46], v[46:47], v[162:163]
	v_fma_f64 v[64:65], v[48:49], v[160:161], v[45:46]
	s_waitcnt lgkmcnt(12)
	v_mul_f64 v[45:46], v[52:53], v[158:159]
	v_fma_f64 v[66:67], v[50:51], v[156:157], -v[45:46]
	v_mul_f64 v[45:46], v[50:51], v[158:159]
	v_fma_f64 v[49:50], v[52:53], v[156:157], v[45:46]
	v_mul_u32_u24_sdwa v45, v89, v77 dst_sel:DWORD dst_unused:UNUSED_PAD src0_sel:WORD_0 src1_sel:DWORD
	v_lshrrev_b32_e32 v45, 16, v45
	v_sub_nc_u16 v46, v89, v45
	v_lshrrev_b16 v46, 1, v46
	v_add_nc_u16 v45, v46, v45
	v_lshrrev_b16 v45, 6, v45
	v_mul_lo_u16 v46, 0x7d, v45
	v_sub_nc_u16 v46, v89, v46
	v_lshlrev_b16 v47, 5, v46
	v_and_b32_e32 v47, 0xffff, v47
	v_add_co_u32 v47, s16, s10, v47
	v_add_co_ci_u32_e64 v48, null, s11, 0, s16
	s_clause 0x1
	global_load_dwordx4 v[164:167], v[47:48], off offset:1936
	global_load_dwordx4 v[168:171], v[47:48], off offset:1920
	s_waitcnt vmcnt(0) lgkmcnt(10)
	v_mul_f64 v[47:48], v[56:57], v[170:171]
	v_fma_f64 v[51:52], v[54:55], v[168:169], -v[47:48]
	v_mul_f64 v[47:48], v[54:55], v[170:171]
	v_fma_f64 v[53:54], v[56:57], v[168:169], v[47:48]
	s_waitcnt lgkmcnt(9)
	v_mul_f64 v[47:48], v[60:61], v[166:167]
	v_fma_f64 v[55:56], v[58:59], v[164:165], -v[47:48]
	v_mul_f64 v[47:48], v[58:59], v[166:167]
	v_fma_f64 v[57:58], v[60:61], v[164:165], v[47:48]
	v_mul_u32_u24_sdwa v47, v90, v77 dst_sel:DWORD dst_unused:UNUSED_PAD src0_sel:WORD_0 src1_sel:DWORD
	v_lshrrev_b32_e32 v47, 16, v47
	v_sub_nc_u16 v48, v90, v47
	v_lshrrev_b16 v48, 1, v48
	v_add_nc_u16 v47, v48, v47
	v_lshrrev_b16 v47, 6, v47
	v_mul_lo_u16 v48, 0x7d, v47
	v_sub_nc_u16 v48, v90, v48
	v_lshlrev_b16 v59, 5, v48
	v_and_b32_e32 v59, 0xffff, v59
	v_add_co_u32 v59, s16, s10, v59
	v_add_co_ci_u32_e64 v60, null, s11, 0, s16
	s_clause 0x1
	global_load_dwordx4 v[172:175], v[59:60], off offset:1936
	global_load_dwordx4 v[176:179], v[59:60], off offset:1920
	s_waitcnt vmcnt(0) lgkmcnt(7)
	v_mul_f64 v[59:60], v[42:43], v[178:179]
	v_fma_f64 v[59:60], v[40:41], v[176:177], -v[59:60]
	v_mul_f64 v[40:41], v[40:41], v[178:179]
	v_fma_f64 v[42:43], v[42:43], v[176:177], v[40:41]
	s_waitcnt lgkmcnt(6)
	v_mul_f64 v[40:41], v[38:39], v[174:175]
	v_fma_f64 v[68:69], v[36:37], v[172:173], -v[40:41]
	v_mul_f64 v[36:37], v[36:37], v[174:175]
	v_add_f64 v[40:41], v[53:54], v[57:58]
	v_fma_f64 v[70:71], v[38:39], v[172:173], v[36:37]
	v_mul_u32_u24_sdwa v36, v86, v77 dst_sel:DWORD dst_unused:UNUSED_PAD src0_sel:WORD_0 src1_sel:DWORD
	v_fma_f64 v[40:41], v[40:41], -0.5, v[14:15]
	v_lshrrev_b32_e32 v36, 16, v36
	v_sub_nc_u16 v37, v86, v36
	v_lshrrev_b16 v37, 1, v37
	v_add_nc_u16 v36, v37, v36
	v_lshrrev_b16 v36, 6, v36
	v_mul_lo_u16 v37, 0x7d, v36
	v_sub_nc_u16 v37, v86, v37
	v_lshlrev_b16 v38, 5, v37
	v_and_b32_e32 v38, 0xffff, v38
	v_add_co_u32 v38, s16, s10, v38
	v_add_co_ci_u32_e64 v39, null, s11, 0, s16
	s_clause 0x1
	global_load_dwordx4 v[180:183], v[38:39], off offset:1936
	global_load_dwordx4 v[184:187], v[38:39], off offset:1920
	s_waitcnt vmcnt(0) lgkmcnt(4)
	v_mul_f64 v[38:39], v[34:35], v[186:187]
	v_fma_f64 v[72:73], v[32:33], v[184:185], -v[38:39]
	v_mul_f64 v[32:33], v[32:33], v[186:187]
	v_add_f64 v[38:39], v[53:54], -v[57:58]
	v_fma_f64 v[34:35], v[34:35], v[184:185], v[32:33]
	s_waitcnt lgkmcnt(3)
	v_mul_f64 v[32:33], v[30:31], v[182:183]
	v_fma_f64 v[74:75], v[28:29], v[180:181], -v[32:33]
	v_mul_f64 v[28:29], v[28:29], v[182:183]
	v_add_f64 v[32:33], v[51:52], v[55:56]
	v_fma_f64 v[80:81], v[30:31], v[180:181], v[28:29]
	v_mul_u32_u24_sdwa v28, v87, v77 dst_sel:DWORD dst_unused:UNUSED_PAD src0_sel:WORD_0 src1_sel:DWORD
	v_fma_f64 v[32:33], v[32:33], -0.5, v[12:13]
	v_lshrrev_b32_e32 v28, 16, v28
	v_sub_nc_u16 v29, v87, v28
	v_lshrrev_b16 v29, 1, v29
	v_add_nc_u16 v28, v29, v28
	v_lshrrev_b16 v28, 6, v28
	v_mul_lo_u16 v29, 0x7d, v28
	v_sub_nc_u16 v29, v87, v29
	v_lshlrev_b16 v30, 5, v29
	v_and_b32_e32 v30, 0xffff, v30
	v_add_co_u32 v30, s16, s10, v30
	v_add_co_ci_u32_e64 v31, null, s11, 0, s16
	s_clause 0x1
	global_load_dwordx4 v[188:191], v[30:31], off offset:1936
	global_load_dwordx4 v[192:195], v[30:31], off offset:1920
	s_mov_b32 s16, 0xe8584caa
	s_mov_b32 s17, 0x3febb67a
	;; [unrolled: 1-line block ×3, first 2 shown]
	s_waitcnt vmcnt(0) lgkmcnt(0)
	s_barrier
	buffer_gl0_inv
	v_mul_f64 v[30:31], v[26:27], v[194:195]
	v_fma_f64 v[82:83], v[24:25], v[192:193], -v[30:31]
	v_mul_f64 v[24:25], v[24:25], v[194:195]
	v_add_f64 v[30:31], v[62:63], -v[66:67]
	v_fma_f64 v[84:85], v[26:27], v[192:193], v[24:25]
	v_mul_f64 v[24:25], v[22:23], v[190:191]
	v_add_f64 v[26:27], v[64:65], v[49:50]
	v_fma_f64 v[97:98], v[20:21], v[188:189], -v[24:25]
	v_mul_f64 v[20:21], v[20:21], v[190:191]
	v_add_f64 v[24:25], v[64:65], -v[49:50]
	v_fma_f64 v[26:27], v[26:27], -0.5, v[18:19]
	v_fma_f64 v[99:100], v[22:23], v[188:189], v[20:21]
	v_add_f64 v[22:23], v[62:63], v[66:67]
	v_add_f64 v[20:21], v[16:17], v[62:63]
	v_fma_f64 v[22:23], v[22:23], -0.5, v[16:17]
	v_add_f64 v[20:21], v[20:21], v[66:67]
	v_fma_f64 v[16:17], v[24:25], s[16:17], v[22:23]
	v_fma_f64 v[24:25], v[24:25], s[18:19], v[22:23]
	v_add_f64 v[22:23], v[18:19], v[64:65]
	v_fma_f64 v[18:19], v[30:31], s[18:19], v[26:27]
	v_fma_f64 v[26:27], v[30:31], s[16:17], v[26:27]
	;; [unrolled: 3-line block ×3, first 2 shown]
	v_add_f64 v[32:33], v[14:15], v[53:54]
	v_add_f64 v[53:54], v[42:43], -v[70:71]
	v_add_f64 v[22:23], v[22:23], v[49:50]
	v_add_f64 v[49:50], v[51:52], -v[55:56]
	v_add_f64 v[51:52], v[59:60], v[68:69]
	v_add_f64 v[30:31], v[30:31], v[55:56]
	v_add_f64 v[55:56], v[59:60], -v[68:69]
	v_add_f64 v[32:33], v[32:33], v[57:58]
	v_fma_f64 v[14:15], v[49:50], s[18:19], v[40:41]
	v_fma_f64 v[51:52], v[51:52], -0.5, v[8:9]
	v_fma_f64 v[40:41], v[49:50], s[16:17], v[40:41]
	v_add_f64 v[49:50], v[8:9], v[59:60]
	v_add_f64 v[59:60], v[34:35], -v[80:81]
	v_fma_f64 v[8:9], v[53:54], s[16:17], v[51:52]
	v_fma_f64 v[53:54], v[53:54], s[18:19], v[51:52]
	v_add_f64 v[51:52], v[10:11], v[42:43]
	v_add_f64 v[42:43], v[42:43], v[70:71]
	;; [unrolled: 1-line block ×4, first 2 shown]
	v_fma_f64 v[42:43], v[42:43], -0.5, v[10:11]
	v_fma_f64 v[10:11], v[55:56], s[18:19], v[42:43]
	v_fma_f64 v[55:56], v[55:56], s[16:17], v[42:43]
	v_add_f64 v[42:43], v[4:5], v[72:73]
	v_add_f64 v[57:58], v[42:43], v[74:75]
	;; [unrolled: 1-line block ×3, first 2 shown]
	v_fma_f64 v[42:43], v[42:43], -0.5, v[4:5]
	v_fma_f64 v[4:5], v[59:60], s[16:17], v[42:43]
	v_fma_f64 v[61:62], v[59:60], s[18:19], v[42:43]
	v_add_f64 v[42:43], v[6:7], v[34:35]
	v_add_f64 v[34:35], v[34:35], v[80:81]
	;; [unrolled: 1-line block ×3, first 2 shown]
	v_fma_f64 v[34:35], v[34:35], -0.5, v[6:7]
	v_add_f64 v[42:43], v[72:73], -v[74:75]
	v_fma_f64 v[6:7], v[42:43], s[18:19], v[34:35]
	v_fma_f64 v[63:64], v[42:43], s[16:17], v[34:35]
	v_add_f64 v[34:35], v[0:1], v[82:83]
	v_add_f64 v[42:43], v[84:85], -v[99:100]
	v_add_f64 v[65:66], v[34:35], v[97:98]
	v_add_f64 v[34:35], v[82:83], v[97:98]
	v_fma_f64 v[34:35], v[34:35], -0.5, v[0:1]
	v_fma_f64 v[0:1], v[42:43], s[16:17], v[34:35]
	v_fma_f64 v[69:70], v[42:43], s[18:19], v[34:35]
	v_add_f64 v[34:35], v[2:3], v[84:85]
	v_add_f64 v[42:43], v[82:83], -v[97:98]
	v_add_f64 v[67:68], v[34:35], v[99:100]
	v_add_f64 v[34:35], v[84:85], v[99:100]
	v_fma_f64 v[34:35], v[34:35], -0.5, v[2:3]
	v_fma_f64 v[2:3], v[42:43], s[18:19], v[34:35]
	v_fma_f64 v[71:72], v[42:43], s[16:17], v[34:35]
	v_cndmask_b32_e64 v34, 0, 0x177, vcc_lo
	v_add_lshl_u32 v34, v44, v34, 4
	buffer_store_dword v34, off, s[24:27], 0 offset:480 ; 4-byte Folded Spill
	ds_write_b128 v34, v[20:23]
	ds_write_b128 v34, v[16:19] offset:2000
	ds_write_b128 v34, v[24:27] offset:4000
	v_mad_u16 v16, 0x177, v45, v46
	v_lshlrev_b32_sdwa v16, v96, v16 dst_sel:DWORD dst_unused:UNUSED_PAD src0_sel:DWORD src1_sel:WORD_0
	buffer_store_dword v16, off, s[24:27], 0 offset:476 ; 4-byte Folded Spill
	ds_write_b128 v16, v[30:33]
	ds_write_b128 v16, v[12:15] offset:2000
	ds_write_b128 v16, v[38:41] offset:4000
	v_mad_u16 v12, 0x177, v47, v48
	v_lshlrev_b32_sdwa v12, v96, v12 dst_sel:DWORD dst_unused:UNUSED_PAD src0_sel:DWORD src1_sel:WORD_0
	;; [unrolled: 6-line block ×3, first 2 shown]
	buffer_store_dword v8, off, s[24:27], 0 offset:468 ; 4-byte Folded Spill
	ds_write_b128 v8, v[57:60]
	ds_write_b128 v8, v[4:7] offset:2000
	ds_write_b128 v8, v[61:64] offset:4000
	v_mad_u16 v4, 0x177, v28, v29
	v_lshlrev_b32_e32 v28, 5, v102
	v_lshlrev_b32_sdwa v4, v96, v4 dst_sel:DWORD dst_unused:UNUSED_PAD src0_sel:DWORD src1_sel:WORD_0
	v_add_co_u32 v30, s20, s10, v28
	v_add_co_ci_u32_e64 v31, null, s11, 0, s20
	buffer_store_dword v4, off, s[24:27], 0 offset:464 ; 4-byte Folded Spill
	v_add_co_u32 v28, vcc_lo, 0x1720, v30
	v_add_co_ci_u32_e32 v29, vcc_lo, 0, v31, vcc_lo
	v_add_co_u32 v64, vcc_lo, 0x1000, v30
	ds_write_b128 v4, v[65:68]
	ds_write_b128 v4, v[0:3] offset:2000
	ds_write_b128 v4, v[69:72] offset:4000
	v_add_co_ci_u32_e32 v65, vcc_lo, 0, v31, vcc_lo
	s_waitcnt lgkmcnt(0)
	s_waitcnt_vscnt null, 0x0
	s_barrier
	buffer_gl0_inv
	ds_read_b128 v[16:19], v76
	ds_read_b128 v[32:35], v76 offset:18000
	ds_read_b128 v[36:39], v76 offset:36000
	;; [unrolled: 1-line block ×14, first 2 shown]
	buffer_store_dword v102, off, s[24:27], 0 offset:456 ; 4-byte Folded Spill
	s_clause 0x1
	global_load_dwordx4 v[200:203], v[64:65], off offset:1824
	global_load_dwordx4 v[196:199], v[28:29], off offset:16
	v_cmp_gt_u16_e32 vcc_lo, 0x96, v88
	s_waitcnt vmcnt(1) lgkmcnt(13)
	v_mul_f64 v[28:29], v[34:35], v[202:203]
	v_fma_f64 v[64:65], v[32:33], v[200:201], -v[28:29]
	v_mul_f64 v[28:29], v[32:33], v[202:203]
	v_fma_f64 v[33:34], v[34:35], v[200:201], v[28:29]
	s_waitcnt vmcnt(0) lgkmcnt(12)
	v_mul_f64 v[28:29], v[38:39], v[198:199]
	v_fma_f64 v[66:67], v[36:37], v[196:197], -v[28:29]
	v_mul_f64 v[28:29], v[36:37], v[198:199]
	v_fma_f64 v[35:36], v[38:39], v[196:197], v[28:29]
	v_add_co_u32 v28, s20, 0xffffff6a, v102
	v_add_co_ci_u32_e64 v29, null, 0, -1, s20
	v_cndmask_b32_e32 v28, v28, v89, vcc_lo
	v_cndmask_b32_e32 v29, v29, v78, vcc_lo
	v_lshlrev_b64 v[37:38], 5, v[28:29]
	v_add_co_u32 v29, vcc_lo, s10, v37
	v_add_co_ci_u32_e32 v32, vcc_lo, s11, v38, vcc_lo
	v_add_co_u32 v37, vcc_lo, 0x1720, v29
	v_add_co_ci_u32_e32 v38, vcc_lo, 0, v32, vcc_lo
	;; [unrolled: 2-line block ×3, first 2 shown]
	s_clause 0x1
	global_load_dwordx4 v[208:211], v[68:69], off offset:1824
	global_load_dwordx4 v[204:207], v[37:38], off offset:16
	s_waitcnt vmcnt(1) lgkmcnt(10)
	v_mul_f64 v[37:38], v[42:43], v[210:211]
	v_fma_f64 v[68:69], v[40:41], v[208:209], -v[37:38]
	v_mul_f64 v[37:38], v[40:41], v[210:211]
	v_fma_f64 v[39:40], v[42:43], v[208:209], v[37:38]
	s_waitcnt vmcnt(0) lgkmcnt(9)
	v_mul_f64 v[37:38], v[46:47], v[206:207]
	v_fma_f64 v[41:42], v[44:45], v[204:205], -v[37:38]
	v_mul_f64 v[37:38], v[44:45], v[206:207]
	v_fma_f64 v[43:44], v[46:47], v[204:205], v[37:38]
	v_add_co_u32 v37, vcc_lo, 0x2080, v30
	v_add_co_ci_u32_e32 v38, vcc_lo, 0, v31, vcc_lo
	v_add_co_u32 v45, vcc_lo, 0x2000, v30
	v_add_co_ci_u32_e32 v46, vcc_lo, 0, v31, vcc_lo
	s_clause 0x1
	global_load_dwordx4 v[216:219], v[45:46], off offset:128
	global_load_dwordx4 v[212:215], v[37:38], off offset:16
	s_waitcnt vmcnt(1) lgkmcnt(7)
	v_mul_f64 v[37:38], v[50:51], v[218:219]
	v_fma_f64 v[70:71], v[48:49], v[216:217], -v[37:38]
	v_mul_f64 v[37:38], v[48:49], v[218:219]
	v_fma_f64 v[47:48], v[50:51], v[216:217], v[37:38]
	s_waitcnt vmcnt(0) lgkmcnt(6)
	v_mul_f64 v[37:38], v[54:55], v[214:215]
	v_fma_f64 v[49:50], v[52:53], v[212:213], -v[37:38]
	v_mul_f64 v[37:38], v[52:53], v[214:215]
	v_mov_b32_e32 v53, 0x5d87
	v_mul_u32_u24_sdwa v29, v86, v53 dst_sel:DWORD dst_unused:UNUSED_PAD src0_sel:WORD_0 src1_sel:DWORD
	v_lshrrev_b32_e32 v29, 16, v29
	v_sub_nc_u16 v32, v86, v29
	v_lshrrev_b16 v32, 1, v32
	v_fma_f64 v[51:52], v[54:55], v[212:213], v[37:38]
	v_add_nc_u16 v29, v32, v29
	v_lshrrev_b16 v29, 8, v29
	v_mul_lo_u16 v32, 0x177, v29
	v_sub_nc_u16 v32, v86, v32
	v_lshlrev_b16 v37, 5, v32
	v_and_b32_e32 v37, 0xffff, v37
	v_add_co_u32 v45, s20, s10, v37
	v_add_co_ci_u32_e64 v46, null, s11, 0, s20
	v_add_co_u32 v37, vcc_lo, 0x1720, v45
	v_add_co_ci_u32_e32 v38, vcc_lo, 0, v46, vcc_lo
	v_add_co_u32 v45, vcc_lo, 0x1000, v45
	v_add_co_ci_u32_e32 v46, vcc_lo, 0, v46, vcc_lo
	s_clause 0x1
	global_load_dwordx4 v[224:227], v[45:46], off offset:1824
	global_load_dwordx4 v[220:223], v[37:38], off offset:16
	s_waitcnt vmcnt(1) lgkmcnt(4)
	v_mul_f64 v[37:38], v[58:59], v[226:227]
	v_fma_f64 v[72:73], v[56:57], v[224:225], -v[37:38]
	v_mul_f64 v[37:38], v[56:57], v[226:227]
	v_fma_f64 v[55:56], v[58:59], v[224:225], v[37:38]
	s_waitcnt vmcnt(0) lgkmcnt(3)
	v_mul_f64 v[37:38], v[62:63], v[222:223]
	v_fma_f64 v[57:58], v[60:61], v[220:221], -v[37:38]
	v_mul_f64 v[37:38], v[60:61], v[222:223]
	v_fma_f64 v[59:60], v[62:63], v[220:221], v[37:38]
	v_mul_u32_u24_sdwa v37, v87, v53 dst_sel:DWORD dst_unused:UNUSED_PAD src0_sel:WORD_0 src1_sel:DWORD
	v_lshrrev_b32_e32 v37, 16, v37
	v_sub_nc_u16 v38, v87, v37
	v_lshrrev_b16 v38, 1, v38
	v_add_nc_u16 v37, v38, v37
	v_add_f64 v[53:54], v[55:56], -v[59:60]
	v_lshrrev_b16 v37, 8, v37
	v_mul_lo_u16 v37, 0x177, v37
	v_sub_nc_u16 v77, v87, v37
	v_lshlrev_b16 v37, 5, v77
	v_and_b32_e32 v37, 0xffff, v37
	v_add_co_u32 v45, s20, s10, v37
	v_add_co_ci_u32_e64 v46, null, s11, 0, s20
	v_add_co_u32 v37, vcc_lo, 0x1720, v45
	v_add_co_ci_u32_e32 v38, vcc_lo, 0, v46, vcc_lo
	v_add_co_u32 v45, vcc_lo, 0x1000, v45
	v_add_co_ci_u32_e32 v46, vcc_lo, 0, v46, vcc_lo
	s_clause 0x1
	global_load_dwordx4 v[232:235], v[45:46], off offset:1824
	global_load_dwordx4 v[228:231], v[37:38], off offset:16
	v_add_f64 v[45:46], v[47:48], -v[51:52]
	v_cmp_lt_u16_e32 vcc_lo, 0x95, v88
	s_waitcnt vmcnt(0) lgkmcnt(0)
	s_waitcnt_vscnt null, 0x0
	s_barrier
	buffer_gl0_inv
	v_mul_f64 v[37:38], v[26:27], v[234:235]
	v_fma_f64 v[74:75], v[24:25], v[232:233], -v[37:38]
	v_mul_f64 v[24:25], v[24:25], v[234:235]
	v_add_f64 v[37:38], v[39:40], -v[43:44]
	v_fma_f64 v[80:81], v[26:27], v[232:233], v[24:25]
	v_mul_f64 v[24:25], v[22:23], v[230:231]
	v_add_f64 v[26:27], v[33:34], v[35:36]
	v_fma_f64 v[82:83], v[20:21], v[228:229], -v[24:25]
	v_mul_f64 v[20:21], v[20:21], v[230:231]
	v_add_f64 v[24:25], v[33:34], -v[35:36]
	v_fma_f64 v[26:27], v[26:27], -0.5, v[18:19]
	v_fma_f64 v[84:85], v[22:23], v[228:229], v[20:21]
	v_add_f64 v[22:23], v[64:65], v[66:67]
	v_add_f64 v[20:21], v[16:17], v[64:65]
	v_add_f64 v[61:62], v[80:81], -v[84:85]
	v_fma_f64 v[22:23], v[22:23], -0.5, v[16:17]
	v_add_f64 v[20:21], v[20:21], v[66:67]
	v_fma_f64 v[16:17], v[24:25], s[16:17], v[22:23]
	v_fma_f64 v[24:25], v[24:25], s[18:19], v[22:23]
	v_add_f64 v[22:23], v[18:19], v[33:34]
	v_add_f64 v[33:34], v[64:65], -v[66:67]
	v_add_f64 v[63:64], v[80:81], v[84:85]
	v_add_f64 v[65:66], v[74:75], -v[82:83]
	v_add_f64 v[22:23], v[22:23], v[35:36]
	v_add_f64 v[35:36], v[68:69], v[41:42]
	v_fma_f64 v[18:19], v[33:34], s[18:19], v[26:27]
	v_fma_f64 v[26:27], v[33:34], s[16:17], v[26:27]
	v_add_f64 v[33:34], v[12:13], v[68:69]
	v_fma_f64 v[63:64], v[63:64], -0.5, v[2:3]
	ds_write_b128 v76, v[20:23]
	ds_write_b128 v76, v[16:19] offset:6000
	ds_write_b128 v76, v[24:27] offset:12000
	v_fma_f64 v[35:36], v[35:36], -0.5, v[12:13]
	v_cndmask_b32_e64 v16, 0, 0x465, vcc_lo
	v_add_f64 v[33:34], v[33:34], v[41:42]
	v_add_f64 v[41:42], v[68:69], -v[41:42]
	v_add_lshl_u32 v16, v28, v16, 4
	v_add_co_u32 v28, vcc_lo, 0x4600, v30
	buffer_store_dword v16, off, s[24:27], 0 offset:492 ; 4-byte Folded Spill
	v_fma_f64 v[12:13], v[37:38], s[16:17], v[35:36]
	v_fma_f64 v[37:38], v[37:38], s[18:19], v[35:36]
	v_add_f64 v[35:36], v[14:15], v[39:40]
	v_add_f64 v[39:40], v[39:40], v[43:44]
	;; [unrolled: 1-line block ×4, first 2 shown]
	v_fma_f64 v[39:40], v[39:40], -0.5, v[14:15]
	v_fma_f64 v[43:44], v[43:44], -0.5, v[8:9]
	v_fma_f64 v[14:15], v[41:42], s[18:19], v[39:40]
	v_fma_f64 v[39:40], v[41:42], s[16:17], v[39:40]
	v_add_f64 v[41:42], v[8:9], v[70:71]
	v_fma_f64 v[8:9], v[45:46], s[16:17], v[43:44]
	v_fma_f64 v[45:46], v[45:46], s[18:19], v[43:44]
	v_add_f64 v[43:44], v[10:11], v[47:48]
	v_add_f64 v[47:48], v[47:48], v[51:52]
	;; [unrolled: 1-line block ×3, first 2 shown]
	v_add_f64 v[49:50], v[70:71], -v[49:50]
	v_add_f64 v[43:44], v[43:44], v[51:52]
	v_add_f64 v[51:52], v[72:73], v[57:58]
	v_fma_f64 v[47:48], v[47:48], -0.5, v[10:11]
	v_fma_f64 v[51:52], v[51:52], -0.5, v[4:5]
	v_fma_f64 v[10:11], v[49:50], s[18:19], v[47:48]
	v_fma_f64 v[47:48], v[49:50], s[16:17], v[47:48]
	v_add_f64 v[49:50], v[4:5], v[72:73]
	ds_write_b128 v16, v[33:36]
	ds_write_b128 v16, v[12:15] offset:6000
	ds_write_b128 v16, v[37:40] offset:12000
	;; [unrolled: 1-line block ×5, first 2 shown]
	v_mad_u16 v8, 0x465, v29, v32
	v_add_co_ci_u32_e32 v29, vcc_lo, 0, v31, vcc_lo
	v_fma_f64 v[4:5], v[53:54], s[16:17], v[51:52]
	v_fma_f64 v[53:54], v[53:54], s[18:19], v[51:52]
	v_add_f64 v[51:52], v[6:7], v[55:56]
	v_add_f64 v[55:56], v[55:56], v[59:60]
	;; [unrolled: 1-line block ×3, first 2 shown]
	v_add_f64 v[57:58], v[72:73], -v[57:58]
	v_lshlrev_b32_sdwa v8, v96, v8 dst_sel:DWORD dst_unused:UNUSED_PAD src0_sel:DWORD src1_sel:WORD_0
	v_add_co_u32 v30, vcc_lo, 0x4000, v30
	v_add_co_ci_u32_e32 v31, vcc_lo, 0, v31, vcc_lo
	buffer_store_dword v8, off, s[24:27], 0 offset:488 ; 4-byte Folded Spill
	v_add_f64 v[51:52], v[51:52], v[59:60]
	v_add_f64 v[59:60], v[74:75], v[82:83]
	v_fma_f64 v[55:56], v[55:56], -0.5, v[6:7]
	v_fma_f64 v[59:60], v[59:60], -0.5, v[0:1]
	v_fma_f64 v[6:7], v[57:58], s[18:19], v[55:56]
	v_fma_f64 v[55:56], v[57:58], s[16:17], v[55:56]
	v_add_f64 v[57:58], v[0:1], v[74:75]
	ds_write_b128 v8, v[49:52]
	ds_write_b128 v8, v[4:7] offset:6000
	ds_write_b128 v8, v[53:56] offset:12000
	v_fma_f64 v[0:1], v[61:62], s[16:17], v[59:60]
	v_fma_f64 v[61:62], v[61:62], s[18:19], v[59:60]
	v_add_f64 v[59:60], v[2:3], v[80:81]
	v_add_f64 v[57:58], v[57:58], v[82:83]
	v_fma_f64 v[2:3], v[65:66], s[18:19], v[63:64]
	v_fma_f64 v[63:64], v[65:66], s[16:17], v[63:64]
	v_lshlrev_b32_sdwa v4, v96, v77 dst_sel:DWORD dst_unused:UNUSED_PAD src0_sel:DWORD src1_sel:WORD_0
	buffer_store_dword v4, off, s[24:27], 0 offset:484 ; 4-byte Folded Spill
	v_add_f64 v[59:60], v[59:60], v[84:85]
	ds_write_b128 v4, v[57:60] offset:36000
	ds_write_b128 v4, v[0:3] offset:42000
	;; [unrolled: 1-line block ×3, first 2 shown]
	s_waitcnt lgkmcnt(0)
	s_waitcnt_vscnt null, 0x0
	s_barrier
	buffer_gl0_inv
	ds_read_b128 v[16:19], v76
	ds_read_b128 v[20:23], v76 offset:18000
	ds_read_b128 v[24:27], v76 offset:36000
	;; [unrolled: 1-line block ×14, first 2 shown]
	s_clause 0x1
	global_load_dwordx4 v[240:243], v[30:31], off offset:1536
	global_load_dwordx4 v[236:239], v[28:29], off offset:16
	s_waitcnt vmcnt(1) lgkmcnt(13)
	v_mul_f64 v[28:29], v[22:23], v[242:243]
	v_fma_f64 v[28:29], v[20:21], v[240:241], -v[28:29]
	v_mul_f64 v[20:21], v[20:21], v[242:243]
	v_fma_f64 v[30:31], v[22:23], v[240:241], v[20:21]
	s_waitcnt vmcnt(0) lgkmcnt(12)
	v_mul_f64 v[20:21], v[26:27], v[238:239]
	v_fma_f64 v[64:65], v[24:25], v[236:237], -v[20:21]
	v_mul_f64 v[20:21], v[24:25], v[238:239]
	v_fma_f64 v[26:27], v[26:27], v[236:237], v[20:21]
	v_lshlrev_b32_e32 v20, 5, v89
	v_add_co_u32 v22, s20, s10, v20
	v_add_co_ci_u32_e64 v23, null, s11, 0, s20
	v_add_co_u32 v20, vcc_lo, 0x4600, v22
	v_add_co_ci_u32_e32 v21, vcc_lo, 0, v23, vcc_lo
	v_add_co_u32 v22, vcc_lo, 0x4000, v22
	v_add_co_ci_u32_e32 v23, vcc_lo, 0, v23, vcc_lo
	s_clause 0x1
	global_load_dwordx4 v[248:251], v[22:23], off offset:1536
	global_load_dwordx4 v[244:247], v[20:21], off offset:16
	s_waitcnt vmcnt(1) lgkmcnt(10)
	v_mul_f64 v[20:21], v[34:35], v[250:251]
	v_fma_f64 v[66:67], v[32:33], v[248:249], -v[20:21]
	v_mul_f64 v[20:21], v[32:33], v[250:251]
	v_add_f64 v[32:33], v[30:31], -v[26:27]
	v_fma_f64 v[34:35], v[34:35], v[248:249], v[20:21]
	s_waitcnt vmcnt(0) lgkmcnt(9)
	v_mul_f64 v[20:21], v[38:39], v[246:247]
	v_fma_f64 v[68:69], v[36:37], v[244:245], -v[20:21]
	v_mul_f64 v[20:21], v[36:37], v[246:247]
	v_fma_f64 v[36:37], v[38:39], v[244:245], v[20:21]
	v_lshlrev_b32_e32 v20, 5, v90
	v_add_co_u32 v22, s20, s10, v20
	v_add_co_ci_u32_e64 v23, null, s11, 0, s20
	v_add_co_u32 v20, vcc_lo, 0x4600, v22
	v_add_co_ci_u32_e32 v21, vcc_lo, 0, v23, vcc_lo
	v_add_co_u32 v22, vcc_lo, 0x4000, v22
	v_add_co_ci_u32_e32 v23, vcc_lo, 0, v23, vcc_lo
	s_clause 0x1
	global_load_dwordx4 v[104:107], v[22:23], off offset:1536
	global_load_dwordx4 v[252:255], v[20:21], off offset:16
	s_waitcnt vmcnt(1) lgkmcnt(7)
	v_mul_f64 v[20:21], v[42:43], v[106:107]
	v_fma_f64 v[70:71], v[40:41], v[104:105], -v[20:21]
	v_mul_f64 v[20:21], v[40:41], v[106:107]
	v_fma_f64 v[42:43], v[42:43], v[104:105], v[20:21]
	s_waitcnt vmcnt(0) lgkmcnt(6)
	v_mul_f64 v[20:21], v[46:47], v[254:255]
	v_fma_f64 v[72:73], v[44:45], v[252:253], -v[20:21]
	v_mul_f64 v[20:21], v[44:45], v[254:255]
	v_add_f64 v[38:39], v[70:71], v[72:73]
	v_fma_f64 v[44:45], v[46:47], v[252:253], v[20:21]
	v_lshlrev_b32_e32 v20, 5, v86
	v_add_co_u32 v22, s20, s10, v20
	v_add_co_ci_u32_e64 v23, null, s11, 0, s20
	v_add_co_u32 v20, vcc_lo, 0x4600, v22
	v_add_co_ci_u32_e32 v21, vcc_lo, 0, v23, vcc_lo
	v_add_co_u32 v22, vcc_lo, 0x4000, v22
	v_add_co_ci_u32_e32 v23, vcc_lo, 0, v23, vcc_lo
	s_clause 0x1
	global_load_dwordx4 v[96:99], v[22:23], off offset:1536
	global_load_dwordx4 v[100:103], v[20:21], off offset:16
	v_fma_f64 v[38:39], v[38:39], -0.5, v[8:9]
	v_add_f64 v[40:41], v[42:43], -v[44:45]
	s_waitcnt vmcnt(1) lgkmcnt(4)
	v_mul_f64 v[20:21], v[50:51], v[98:99]
	v_fma_f64 v[74:75], v[48:49], v[96:97], -v[20:21]
	v_mul_f64 v[20:21], v[48:49], v[98:99]
	v_fma_f64 v[50:51], v[50:51], v[96:97], v[20:21]
	s_waitcnt vmcnt(0) lgkmcnt(3)
	v_mul_f64 v[20:21], v[54:55], v[102:103]
	v_fma_f64 v[89:90], v[52:53], v[100:101], -v[20:21]
	v_mul_f64 v[20:21], v[52:53], v[102:103]
	v_add_f64 v[46:47], v[74:75], v[89:90]
	v_fma_f64 v[52:53], v[54:55], v[100:101], v[20:21]
	v_lshlrev_b32_e32 v20, 5, v87
	v_add_co_u32 v22, s10, s10, v20
	v_add_co_ci_u32_e64 v23, null, s11, 0, s10
	v_add_co_u32 v20, vcc_lo, 0x4600, v22
	v_add_co_ci_u32_e32 v21, vcc_lo, 0, v23, vcc_lo
	v_add_co_u32 v22, vcc_lo, 0x4000, v22
	v_add_co_ci_u32_e32 v23, vcc_lo, 0, v23, vcc_lo
	s_clause 0x1
	global_load_dwordx4 v[81:84], v[22:23], off offset:1536
	global_load_dwordx4 v[85:88], v[20:21], off offset:16
	v_fma_f64 v[46:47], v[46:47], -0.5, v[4:5]
	v_add_f64 v[48:49], v[50:51], -v[52:53]
	s_waitcnt vmcnt(1) lgkmcnt(1)
	v_mul_f64 v[22:23], v[56:57], v[83:84]
	s_waitcnt vmcnt(0) lgkmcnt(0)
	v_mul_f64 v[24:25], v[62:63], v[87:88]
	v_mul_f64 v[20:21], v[58:59], v[83:84]
	v_fma_f64 v[22:23], v[58:59], v[81:82], v[22:23]
	v_fma_f64 v[58:59], v[60:61], v[85:86], -v[24:25]
	v_mul_f64 v[24:25], v[60:61], v[87:88]
	v_fma_f64 v[77:78], v[56:57], v[81:82], -v[20:21]
	v_fma_f64 v[20:21], v[62:63], v[85:86], v[24:25]
	v_add_f64 v[24:25], v[16:17], v[28:29]
	v_add_f64 v[54:55], v[77:78], v[58:59]
	v_add_f64 v[56:57], v[22:23], -v[20:21]
	v_add_f64 v[60:61], v[24:25], v[64:65]
	v_add_f64 v[24:25], v[28:29], v[64:65]
	v_add_f64 v[28:29], v[28:29], -v[64:65]
	v_fma_f64 v[54:55], v[54:55], -0.5, v[0:1]
	v_fma_f64 v[24:25], v[24:25], -0.5, v[16:17]
	v_fma_f64 v[16:17], v[32:33], s[16:17], v[24:25]
	v_fma_f64 v[24:25], v[32:33], s[18:19], v[24:25]
	v_add_f64 v[32:33], v[18:19], v[30:31]
	v_add_f64 v[62:63], v[32:33], v[26:27]
	v_add_f64 v[26:27], v[30:31], v[26:27]
	v_add_f64 v[30:31], v[66:67], v[68:69]
	v_add_f64 v[32:33], v[34:35], -v[36:37]
	v_fma_f64 v[26:27], v[26:27], -0.5, v[18:19]
	v_fma_f64 v[30:31], v[30:31], -0.5, v[12:13]
	v_fma_f64 v[18:19], v[28:29], s[18:19], v[26:27]
	v_fma_f64 v[26:27], v[28:29], s[16:17], v[26:27]
	v_add_f64 v[28:29], v[12:13], v[66:67]
	v_fma_f64 v[12:13], v[32:33], s[16:17], v[30:31]
	v_fma_f64 v[32:33], v[32:33], s[18:19], v[30:31]
	v_add_f64 v[30:31], v[14:15], v[34:35]
	v_add_f64 v[34:35], v[34:35], v[36:37]
	v_add_f64 v[28:29], v[28:29], v[68:69]
	v_add_f64 v[30:31], v[30:31], v[36:37]
	v_fma_f64 v[34:35], v[34:35], -0.5, v[14:15]
	v_add_f64 v[36:37], v[66:67], -v[68:69]
	v_fma_f64 v[14:15], v[36:37], s[18:19], v[34:35]
	v_fma_f64 v[34:35], v[36:37], s[16:17], v[34:35]
	v_add_f64 v[36:37], v[8:9], v[70:71]
	v_fma_f64 v[8:9], v[40:41], s[16:17], v[38:39]
	v_fma_f64 v[40:41], v[40:41], s[18:19], v[38:39]
	v_add_f64 v[38:39], v[10:11], v[42:43]
	v_add_f64 v[42:43], v[42:43], v[44:45]
	v_add_f64 v[36:37], v[36:37], v[72:73]
	v_add_f64 v[38:39], v[38:39], v[44:45]
	v_fma_f64 v[42:43], v[42:43], -0.5, v[10:11]
	v_add_f64 v[44:45], v[70:71], -v[72:73]
	;; [unrolled: 11-line block ×3, first 2 shown]
	v_fma_f64 v[6:7], v[52:53], s[18:19], v[50:51]
	v_fma_f64 v[50:51], v[52:53], s[16:17], v[50:51]
	v_add_f64 v[52:53], v[0:1], v[77:78]
	v_fma_f64 v[0:1], v[56:57], s[16:17], v[54:55]
	v_fma_f64 v[56:57], v[56:57], s[18:19], v[54:55]
	v_add_f64 v[54:55], v[2:3], v[22:23]
	v_add_f64 v[52:53], v[52:53], v[58:59]
	;; [unrolled: 1-line block ×4, first 2 shown]
	v_add_f64 v[22:23], v[77:78], -v[58:59]
	v_fma_f64 v[20:21], v[20:21], -0.5, v[2:3]
	v_fma_f64 v[2:3], v[22:23], s[18:19], v[20:21]
	v_fma_f64 v[58:59], v[22:23], s[16:17], v[20:21]
	ds_write_b128 v76, v[60:63]
	ds_write_b128 v76, v[16:19] offset:18000
	ds_write_b128 v76, v[24:27] offset:36000
	;; [unrolled: 1-line block ×14, first 2 shown]
	v_add_co_u32 v4, vcc_lo, 0xd000, v95
	v_add_co_ci_u32_e32 v5, vcc_lo, 0, v79, vcc_lo
	s_waitcnt lgkmcnt(0)
	s_barrier
	buffer_gl0_inv
	global_load_dwordx4 v[4:7], v[4:5], off offset:752
	ds_read_b128 v[0:3], v76
	s_waitcnt vmcnt(0) lgkmcnt(0)
	v_mul_f64 v[8:9], v[2:3], v[6:7]
	v_fma_f64 v[8:9], v[0:1], v[4:5], -v[8:9]
	v_mul_f64 v[0:1], v[0:1], v[6:7]
	v_fma_f64 v[10:11], v[2:3], v[4:5], v[0:1]
	v_add_co_u32 v4, vcc_lo, 0xf800, v95
	v_add_co_ci_u32_e32 v5, vcc_lo, 0, v79, vcc_lo
	ds_read_b128 v[0:3], v76 offset:10800
	global_load_dwordx4 v[4:7], v[4:5], off offset:1312
	ds_write_b128 v76, v[8:11]
	s_waitcnt vmcnt(0) lgkmcnt(1)
	v_mul_f64 v[8:9], v[2:3], v[6:7]
	v_fma_f64 v[8:9], v[0:1], v[4:5], -v[8:9]
	v_mul_f64 v[0:1], v[0:1], v[6:7]
	v_fma_f64 v[10:11], v[2:3], v[4:5], v[0:1]
	v_add_co_u32 v4, vcc_lo, 0x12000, v95
	v_add_co_ci_u32_e32 v5, vcc_lo, 0, v79, vcc_lo
	ds_read_b128 v[0:3], v76 offset:21600
	global_load_dwordx4 v[4:7], v[4:5], off offset:1872
	ds_write_b128 v76, v[8:11] offset:10800
	s_waitcnt vmcnt(0) lgkmcnt(1)
	v_mul_f64 v[8:9], v[2:3], v[6:7]
	v_fma_f64 v[8:9], v[0:1], v[4:5], -v[8:9]
	v_mul_f64 v[0:1], v[0:1], v[6:7]
	v_fma_f64 v[10:11], v[2:3], v[4:5], v[0:1]
	v_add_co_u32 v4, vcc_lo, 0x15000, v95
	v_add_co_ci_u32_e32 v5, vcc_lo, 0, v79, vcc_lo
	ds_read_b128 v[0:3], v76 offset:32400
	global_load_dwordx4 v[4:7], v[4:5], off offset:384
	ds_write_b128 v76, v[8:11] offset:21600
	;; [unrolled: 10-line block ×13, first 2 shown]
	s_waitcnt vmcnt(0) lgkmcnt(1)
	v_mul_f64 v[8:9], v[2:3], v[6:7]
	v_fma_f64 v[8:9], v[0:1], v[4:5], -v[8:9]
	v_mul_f64 v[0:1], v[0:1], v[6:7]
	v_fma_f64 v[10:11], v[2:3], v[4:5], v[0:1]
	ds_write_b128 v76, v[8:11] offset:50400
	s_waitcnt lgkmcnt(0)
	s_barrier
	buffer_gl0_inv
	ds_read_b128 v[40:43], v76
	ds_read_b128 v[44:47], v76 offset:10800
	ds_read_b128 v[48:51], v76 offset:21600
	;; [unrolled: 1-line block ×14, first 2 shown]
	s_waitcnt lgkmcnt(0)
	s_barrier
	buffer_gl0_inv
	v_add_f64 v[60:61], v[40:41], v[44:45]
	v_add_f64 v[68:69], v[44:45], -v[48:49]
	v_add_f64 v[66:67], v[50:51], -v[54:55]
	;; [unrolled: 1-line block ×4, first 2 shown]
	v_add_f64 v[60:61], v[60:61], v[48:49]
	v_add_f64 v[70:71], v[68:69], v[70:71]
	;; [unrolled: 1-line block ×5, first 2 shown]
	v_fma_f64 v[60:61], v[60:61], -0.5, v[40:41]
	v_fma_f64 v[64:65], v[62:63], s[14:15], v[60:61]
	v_fma_f64 v[60:61], v[62:63], s[2:3], v[60:61]
	;; [unrolled: 1-line block ×6, first 2 shown]
	v_add_f64 v[60:61], v[44:45], v[0:1]
	v_add_f64 v[64:65], v[48:49], -v[44:45]
	v_add_f64 v[70:71], v[52:53], -v[0:1]
	;; [unrolled: 1-line block ×5, first 2 shown]
	v_fma_f64 v[40:41], v[60:61], -0.5, v[40:41]
	v_add_f64 v[64:65], v[64:65], v[70:71]
	v_fma_f64 v[60:61], v[66:67], s[2:3], v[40:41]
	v_fma_f64 v[40:41], v[66:67], s[14:15], v[40:41]
	;; [unrolled: 1-line block ×4, first 2 shown]
	v_add_f64 v[62:63], v[2:3], -v[54:55]
	v_fma_f64 v[60:61], v[64:65], s[4:5], v[60:61]
	v_fma_f64 v[64:65], v[64:65], s[4:5], v[40:41]
	v_add_f64 v[40:41], v[42:43], v[46:47]
	v_add_f64 v[52:53], v[52:53], v[62:63]
	;; [unrolled: 1-line block ×6, first 2 shown]
	v_fma_f64 v[40:41], v[40:41], -0.5, v[42:43]
	v_fma_f64 v[44:45], v[0:1], s[2:3], v[40:41]
	v_fma_f64 v[40:41], v[0:1], s[14:15], v[40:41]
	;; [unrolled: 1-line block ×6, first 2 shown]
	v_add_f64 v[40:41], v[46:47], v[2:3]
	v_add_f64 v[44:45], v[50:51], -v[46:47]
	v_add_f64 v[2:3], v[54:55], -v[2:3]
	;; [unrolled: 1-line block ×3, first 2 shown]
	v_fma_f64 v[40:41], v[40:41], -0.5, v[42:43]
	v_add_f64 v[2:3], v[44:45], v[2:3]
	v_add_f64 v[44:45], v[8:9], -v[4:5]
	v_fma_f64 v[42:43], v[48:49], s[14:15], v[40:41]
	v_fma_f64 v[40:41], v[48:49], s[2:3], v[40:41]
	v_add_f64 v[46:47], v[44:45], v[46:47]
	v_fma_f64 v[42:43], v[0:1], s[6:7], v[42:43]
	v_fma_f64 v[0:1], v[0:1], s[8:9], v[40:41]
	;; [unrolled: 1-line block ×4, first 2 shown]
	v_add_f64 v[0:1], v[36:37], v[8:9]
	v_add_f64 v[2:3], v[10:11], -v[14:15]
	v_add_f64 v[42:43], v[6:7], -v[18:19]
	v_add_f64 v[0:1], v[0:1], v[4:5]
	v_add_f64 v[0:1], v[0:1], v[16:17]
	;; [unrolled: 1-line block ×4, first 2 shown]
	v_fma_f64 v[0:1], v[0:1], -0.5, v[36:37]
	v_fma_f64 v[40:41], v[2:3], s[14:15], v[0:1]
	v_fma_f64 v[0:1], v[2:3], s[2:3], v[0:1]
	;; [unrolled: 1-line block ×6, first 2 shown]
	v_add_f64 v[0:1], v[8:9], v[12:13]
	v_add_f64 v[40:41], v[4:5], -v[8:9]
	v_add_f64 v[46:47], v[16:17], -v[12:13]
	;; [unrolled: 1-line block ×4, first 2 shown]
	v_fma_f64 v[0:1], v[0:1], -0.5, v[36:37]
	v_add_f64 v[40:41], v[40:41], v[46:47]
	v_fma_f64 v[36:37], v[42:43], s[2:3], v[0:1]
	v_fma_f64 v[0:1], v[42:43], s[14:15], v[0:1]
	;; [unrolled: 1-line block ×4, first 2 shown]
	v_add_f64 v[2:3], v[8:9], -v[12:13]
	v_add_f64 v[12:13], v[10:11], -v[6:7]
	v_fma_f64 v[36:37], v[40:41], s[4:5], v[36:37]
	v_fma_f64 v[40:41], v[40:41], s[4:5], v[0:1]
	v_add_f64 v[0:1], v[38:39], v[10:11]
	v_add_f64 v[12:13], v[12:13], v[16:17]
	v_add_f64 v[16:17], v[32:33], -v[28:29]
	v_add_f64 v[0:1], v[0:1], v[6:7]
	v_add_f64 v[0:1], v[0:1], v[18:19]
	;; [unrolled: 1-line block ×4, first 2 shown]
	v_add_f64 v[6:7], v[6:7], -v[10:11]
	v_fma_f64 v[0:1], v[0:1], -0.5, v[38:39]
	v_fma_f64 v[8:9], v[2:3], s[2:3], v[0:1]
	v_fma_f64 v[0:1], v[2:3], s[14:15], v[0:1]
	;; [unrolled: 1-line block ×6, first 2 shown]
	v_add_f64 v[0:1], v[10:11], v[14:15]
	v_add_f64 v[10:11], v[18:19], -v[14:15]
	v_add_f64 v[12:13], v[28:29], -v[32:33]
	;; [unrolled: 1-line block ×4, first 2 shown]
	v_fma_f64 v[0:1], v[0:1], -0.5, v[38:39]
	v_add_f64 v[6:7], v[6:7], v[10:11]
	v_add_f64 v[10:11], v[22:23], -v[34:35]
	v_add_f64 v[14:15], v[14:15], v[16:17]
	v_fma_f64 v[8:9], v[4:5], s[14:15], v[0:1]
	v_fma_f64 v[0:1], v[4:5], s[2:3], v[0:1]
	;; [unrolled: 1-line block ×4, first 2 shown]
	v_add_f64 v[2:3], v[26:27], -v[30:31]
	v_fma_f64 v[38:39], v[6:7], s[4:5], v[8:9]
	v_fma_f64 v[42:43], v[6:7], s[4:5], v[0:1]
	v_add_f64 v[0:1], v[56:57], v[24:25]
	v_add_f64 v[8:9], v[24:25], -v[20:21]
	v_add_f64 v[0:1], v[0:1], v[20:21]
	v_add_f64 v[12:13], v[8:9], v[12:13]
	;; [unrolled: 1-line block ×5, first 2 shown]
	v_add_f64 v[20:21], v[20:21], -v[32:33]
	v_fma_f64 v[0:1], v[0:1], -0.5, v[56:57]
	v_fma_f64 v[6:7], v[2:3], s[14:15], v[0:1]
	v_fma_f64 v[0:1], v[2:3], s[2:3], v[0:1]
	;; [unrolled: 1-line block ×5, first 2 shown]
	v_add_f64 v[6:7], v[24:25], v[28:29]
	v_fma_f64 v[0:1], v[12:13], s[4:5], v[0:1]
	v_fma_f64 v[6:7], v[6:7], -0.5, v[56:57]
	v_fma_f64 v[12:13], v[10:11], s[2:3], v[6:7]
	v_fma_f64 v[6:7], v[10:11], s[14:15], v[6:7]
	;; [unrolled: 1-line block ×6, first 2 shown]
	v_add_f64 v[2:3], v[58:59], v[26:27]
	v_add_f64 v[14:15], v[24:25], -v[28:29]
	v_add_f64 v[24:25], v[30:31], -v[34:35]
	v_add_f64 v[2:3], v[2:3], v[22:23]
	v_add_f64 v[18:19], v[18:19], v[24:25]
	;; [unrolled: 1-line block ×5, first 2 shown]
	v_add_f64 v[22:23], v[22:23], -v[26:27]
	v_fma_f64 v[2:3], v[2:3], -0.5, v[58:59]
	v_fma_f64 v[10:11], v[14:15], s[2:3], v[2:3]
	v_fma_f64 v[2:3], v[14:15], s[14:15], v[2:3]
	v_fma_f64 v[10:11], v[20:21], s[6:7], v[10:11]
	v_fma_f64 v[2:3], v[20:21], s[8:9], v[2:3]
	v_fma_f64 v[10:11], v[18:19], s[4:5], v[10:11]
	v_fma_f64 v[2:3], v[18:19], s[4:5], v[2:3]
	v_add_f64 v[18:19], v[26:27], v[30:31]
	v_add_f64 v[26:27], v[34:35], -v[30:31]
	v_fma_f64 v[24:25], v[18:19], -0.5, v[58:59]
	v_add_f64 v[22:23], v[22:23], v[26:27]
	v_fma_f64 v[18:19], v[20:21], s[14:15], v[24:25]
	v_fma_f64 v[20:21], v[20:21], s[2:3], v[24:25]
	;; [unrolled: 1-line block ×4, first 2 shown]
	buffer_load_dword v20, off, s[24:27], 0 offset:388 ; 4-byte Folded Reload
	s_waitcnt vmcnt(0)
	ds_write_b128 v20, v[72:75]
	ds_write_b128 v20, v[68:71] offset:16
	ds_write_b128 v20, v[60:63] offset:32
	;; [unrolled: 1-line block ×4, first 2 shown]
	buffer_load_dword v20, off, s[24:27], 0 offset:384 ; 4-byte Folded Reload
	s_waitcnt vmcnt(0)
	ds_write_b128 v20, v[48:51]
	ds_write_b128 v20, v[44:47] offset:16
	ds_write_b128 v20, v[36:39] offset:32
	;; [unrolled: 1-line block ×4, first 2 shown]
	buffer_load_dword v20, off, s[24:27], 0 offset:376 ; 4-byte Folded Reload
	v_fma_f64 v[18:19], v[22:23], s[4:5], v[18:19]
	v_fma_f64 v[14:15], v[22:23], s[4:5], v[14:15]
	s_waitcnt vmcnt(0)
	ds_write_b128 v20, v[4:7]
	ds_write_b128 v20, v[8:11] offset:16
	ds_write_b128 v20, v[16:19] offset:32
	;; [unrolled: 1-line block ×4, first 2 shown]
	s_waitcnt lgkmcnt(0)
	s_barrier
	buffer_gl0_inv
	ds_read_b128 v[4:7], v76
	ds_read_b128 v[8:11], v76 offset:10800
	ds_read_b128 v[16:19], v76 offset:21600
	;; [unrolled: 1-line block ×14, first 2 shown]
	s_clause 0x3
	buffer_load_dword v62, off, s[24:27], 0 offset:248
	buffer_load_dword v63, off, s[24:27], 0 offset:252
	;; [unrolled: 1-line block ×4, first 2 shown]
	s_waitcnt vmcnt(0) lgkmcnt(13)
	v_mul_f64 v[60:61], v[64:65], v[10:11]
	v_fma_f64 v[60:61], v[62:63], v[8:9], v[60:61]
	v_mul_f64 v[8:9], v[64:65], v[8:9]
	v_fma_f64 v[8:9], v[62:63], v[10:11], -v[8:9]
	s_clause 0x3
	buffer_load_dword v62, off, s[24:27], 0 offset:264
	buffer_load_dword v63, off, s[24:27], 0 offset:268
	;; [unrolled: 1-line block ×4, first 2 shown]
	s_waitcnt vmcnt(0) lgkmcnt(12)
	v_mul_f64 v[10:11], v[64:65], v[18:19]
	v_fma_f64 v[10:11], v[62:63], v[16:17], v[10:11]
	v_mul_f64 v[16:17], v[64:65], v[16:17]
	v_fma_f64 v[16:17], v[62:63], v[18:19], -v[16:17]
	s_clause 0x3
	buffer_load_dword v62, off, s[24:27], 0 offset:296
	buffer_load_dword v63, off, s[24:27], 0 offset:300
	;; [unrolled: 1-line block ×4, first 2 shown]
	s_waitcnt vmcnt(0) lgkmcnt(11)
	v_mul_f64 v[18:19], v[64:65], v[22:23]
	v_fma_f64 v[18:19], v[62:63], v[20:21], v[18:19]
	v_mul_f64 v[20:21], v[64:65], v[20:21]
	s_clause 0x3
	buffer_load_dword v64, off, s[24:27], 0 offset:280
	buffer_load_dword v65, off, s[24:27], 0 offset:284
	;; [unrolled: 1-line block ×4, first 2 shown]
	v_fma_f64 v[62:63], v[62:63], v[22:23], -v[20:21]
	s_waitcnt vmcnt(0) lgkmcnt(10)
	v_mul_f64 v[20:21], v[66:67], v[26:27]
	v_fma_f64 v[22:23], v[64:65], v[24:25], v[20:21]
	v_mul_f64 v[20:21], v[66:67], v[24:25]
	v_fma_f64 v[66:67], v[64:65], v[26:27], -v[20:21]
	s_clause 0x3
	buffer_load_dword v24, off, s[24:27], 0 offset:412
	buffer_load_dword v25, off, s[24:27], 0 offset:416
	;; [unrolled: 1-line block ×4, first 2 shown]
	s_waitcnt lgkmcnt(8)
	v_mul_f64 v[20:21], v[93:94], v[30:31]
	v_fma_f64 v[70:71], v[91:92], v[28:29], v[20:21]
	v_mul_f64 v[20:21], v[93:94], v[28:29]
	v_fma_f64 v[72:73], v[91:92], v[30:31], -v[20:21]
	v_add_f64 v[30:31], v[8:9], -v[66:67]
	s_waitcnt vmcnt(0) lgkmcnt(7)
	v_mul_f64 v[20:21], v[26:27], v[34:35]
	v_fma_f64 v[74:75], v[24:25], v[32:33], v[20:21]
	v_mul_f64 v[20:21], v[26:27], v[32:33]
	v_add_f64 v[32:33], v[16:17], -v[62:63]
	v_fma_f64 v[77:78], v[24:25], v[34:35], -v[20:21]
	s_clause 0x3
	buffer_load_dword v24, off, s[24:27], 0 offset:396
	buffer_load_dword v25, off, s[24:27], 0 offset:400
	;; [unrolled: 1-line block ×4, first 2 shown]
	s_waitcnt vmcnt(0) lgkmcnt(6)
	v_mul_f64 v[20:21], v[26:27], v[38:39]
	v_fma_f64 v[34:35], v[24:25], v[36:37], v[20:21]
	v_mul_f64 v[20:21], v[26:27], v[36:37]
	v_add_f64 v[36:37], v[60:61], -v[10:11]
	v_fma_f64 v[79:80], v[24:25], v[38:39], -v[20:21]
	s_clause 0x3
	buffer_load_dword v24, off, s[24:27], 0 offset:428
	buffer_load_dword v25, off, s[24:27], 0 offset:432
	;; [unrolled: 1-line block ×4, first 2 shown]
	v_add_f64 v[38:39], v[22:23], -v[18:19]
	s_waitcnt vmcnt(0) lgkmcnt(0)
	s_barrier
	buffer_gl0_inv
	v_add_f64 v[36:37], v[36:37], v[38:39]
	v_add_f64 v[38:39], v[18:19], -v[22:23]
	v_mul_f64 v[20:21], v[26:27], v[42:43]
	v_fma_f64 v[89:90], v[24:25], v[40:41], v[20:21]
	v_mul_f64 v[20:21], v[26:27], v[40:41]
	v_add_f64 v[26:27], v[10:11], v[18:19]
	v_fma_f64 v[94:95], v[24:25], v[42:43], -v[20:21]
	v_mul_f64 v[20:21], v[138:139], v[46:47]
	v_mul_f64 v[24:25], v[138:139], v[44:45]
	v_fma_f64 v[26:27], v[26:27], -0.5, v[4:5]
	v_fma_f64 v[20:21], v[136:137], v[44:45], v[20:21]
	v_fma_f64 v[136:137], v[136:137], v[46:47], -v[24:25]
	v_mul_f64 v[24:25], v[134:135], v[50:51]
	v_fma_f64 v[28:29], v[30:31], s[14:15], v[26:27]
	v_fma_f64 v[26:27], v[30:31], s[2:3], v[26:27]
	;; [unrolled: 1-line block ×3, first 2 shown]
	v_mul_f64 v[24:25], v[134:135], v[48:49]
	v_fma_f64 v[26:27], v[32:33], s[6:7], v[26:27]
	v_fma_f64 v[28:29], v[32:33], s[8:9], v[28:29]
	v_fma_f64 v[48:49], v[132:133], v[50:51], -v[24:25]
	v_mul_f64 v[24:25], v[130:131], v[54:55]
	v_fma_f64 v[44:45], v[36:37], s[4:5], v[26:27]
	v_add_f64 v[26:27], v[60:61], v[22:23]
	v_fma_f64 v[28:29], v[36:37], s[4:5], v[28:29]
	v_add_f64 v[36:37], v[10:11], -v[60:61]
	v_fma_f64 v[50:51], v[128:129], v[52:53], v[24:25]
	v_mul_f64 v[24:25], v[130:131], v[52:53]
	v_add_f64 v[36:37], v[36:37], v[38:39]
	v_fma_f64 v[52:53], v[128:129], v[54:55], -v[24:25]
	v_mul_f64 v[24:25], v[126:127], v[58:59]
	v_fma_f64 v[54:55], v[124:125], v[56:57], v[24:25]
	v_mul_f64 v[24:25], v[126:127], v[56:57]
	v_fma_f64 v[56:57], v[124:125], v[58:59], -v[24:25]
	v_add_f64 v[24:25], v[4:5], v[60:61]
	v_fma_f64 v[4:5], v[26:27], -0.5, v[4:5]
	v_add_f64 v[24:25], v[24:25], v[10:11]
	v_fma_f64 v[26:27], v[32:33], s[2:3], v[4:5]
	v_fma_f64 v[4:5], v[32:33], s[14:15], v[4:5]
	v_add_f64 v[10:11], v[10:11], -v[18:19]
	v_add_f64 v[32:33], v[66:67], -v[62:63]
	v_add_f64 v[24:25], v[24:25], v[18:19]
	v_fma_f64 v[26:27], v[30:31], s[8:9], v[26:27]
	v_fma_f64 v[4:5], v[30:31], s[6:7], v[4:5]
	v_add_f64 v[24:25], v[24:25], v[22:23]
	v_fma_f64 v[40:41], v[36:37], s[4:5], v[26:27]
	v_fma_f64 v[64:65], v[36:37], s[4:5], v[4:5]
	v_add_f64 v[4:5], v[6:7], v[8:9]
	v_add_f64 v[22:23], v[60:61], -v[22:23]
	v_add_f64 v[4:5], v[4:5], v[16:17]
	v_add_f64 v[4:5], v[4:5], v[62:63]
	;; [unrolled: 1-line block ×4, first 2 shown]
	v_fma_f64 v[4:5], v[4:5], -0.5, v[6:7]
	v_fma_f64 v[30:31], v[22:23], s[2:3], v[4:5]
	v_fma_f64 v[4:5], v[22:23], s[14:15], v[4:5]
	;; [unrolled: 1-line block ×3, first 2 shown]
	v_add_f64 v[30:31], v[8:9], -v[16:17]
	v_fma_f64 v[4:5], v[10:11], s[8:9], v[4:5]
	v_add_f64 v[32:33], v[30:31], v[32:33]
	v_fma_f64 v[46:47], v[32:33], s[4:5], v[4:5]
	v_add_f64 v[4:5], v[8:9], v[66:67]
	v_add_f64 v[8:9], v[16:17], -v[8:9]
	v_add_f64 v[16:17], v[62:63], -v[66:67]
	v_fma_f64 v[30:31], v[32:33], s[4:5], v[18:19]
	v_add_f64 v[18:19], v[89:90], -v[34:35]
	v_fma_f64 v[4:5], v[4:5], -0.5, v[6:7]
	v_add_f64 v[8:9], v[8:9], v[16:17]
	v_add_f64 v[16:17], v[70:71], -v[74:75]
	v_fma_f64 v[6:7], v[10:11], s[14:15], v[4:5]
	v_fma_f64 v[4:5], v[10:11], s[2:3], v[4:5]
	v_add_f64 v[10:11], v[77:78], -v[79:80]
	v_add_f64 v[16:17], v[16:17], v[18:19]
	v_add_f64 v[18:19], v[50:51], -v[54:55]
	v_fma_f64 v[6:7], v[22:23], s[6:7], v[6:7]
	v_fma_f64 v[4:5], v[22:23], s[8:9], v[4:5]
	v_add_f64 v[22:23], v[138:139], -v[50:51]
	v_fma_f64 v[42:43], v[8:9], s[4:5], v[6:7]
	v_fma_f64 v[66:67], v[8:9], s[4:5], v[4:5]
	v_add_f64 v[4:5], v[0:1], v[70:71]
	v_add_f64 v[6:7], v[72:73], -v[94:95]
	v_add_f64 v[4:5], v[4:5], v[74:75]
	v_add_f64 v[4:5], v[4:5], v[34:35]
	;; [unrolled: 1-line block ×4, first 2 shown]
	v_fma_f64 v[4:5], v[4:5], -0.5, v[0:1]
	v_fma_f64 v[8:9], v[6:7], s[14:15], v[4:5]
	v_fma_f64 v[4:5], v[6:7], s[2:3], v[4:5]
	;; [unrolled: 1-line block ×6, first 2 shown]
	v_add_f64 v[4:5], v[70:71], v[89:90]
	v_add_f64 v[8:9], v[74:75], -v[70:71]
	v_add_f64 v[16:17], v[34:35], -v[89:90]
	v_fma_f64 v[0:1], v[4:5], -0.5, v[0:1]
	v_add_f64 v[8:9], v[8:9], v[16:17]
	v_add_f64 v[16:17], v[94:95], -v[79:80]
	v_fma_f64 v[4:5], v[10:11], s[2:3], v[0:1]
	v_fma_f64 v[0:1], v[10:11], s[14:15], v[0:1]
	v_add_f64 v[10:11], v[72:73], -v[77:78]
	v_fma_f64 v[4:5], v[6:7], s[8:9], v[4:5]
	v_fma_f64 v[0:1], v[6:7], s[6:7], v[0:1]
	v_add_f64 v[10:11], v[10:11], v[16:17]
	v_add_f64 v[16:17], v[54:55], -v[50:51]
	v_fma_f64 v[92:93], v[8:9], s[4:5], v[4:5]
	v_fma_f64 v[68:69], v[8:9], s[4:5], v[0:1]
	v_add_f64 v[0:1], v[2:3], v[72:73]
	v_add_f64 v[4:5], v[70:71], -v[89:90]
	v_add_f64 v[8:9], v[74:75], -v[34:35]
	v_add_f64 v[0:1], v[0:1], v[77:78]
	v_add_f64 v[0:1], v[0:1], v[79:80]
	;; [unrolled: 1-line block ×4, first 2 shown]
	v_fma_f64 v[0:1], v[0:1], -0.5, v[2:3]
	v_fma_f64 v[6:7], v[4:5], s[2:3], v[0:1]
	v_fma_f64 v[0:1], v[4:5], s[14:15], v[0:1]
	;; [unrolled: 1-line block ×6, first 2 shown]
	v_add_f64 v[0:1], v[72:73], v[94:95]
	v_add_f64 v[6:7], v[77:78], -v[72:73]
	v_add_f64 v[10:11], v[79:80], -v[94:95]
	v_fma_f64 v[0:1], v[0:1], -0.5, v[2:3]
	v_add_f64 v[6:7], v[6:7], v[10:11]
	v_add_f64 v[10:11], v[48:49], -v[52:53]
	v_fma_f64 v[2:3], v[8:9], s[14:15], v[0:1]
	v_fma_f64 v[0:1], v[8:9], s[2:3], v[0:1]
	v_add_f64 v[8:9], v[20:21], -v[138:139]
	v_fma_f64 v[2:3], v[4:5], s[6:7], v[2:3]
	v_fma_f64 v[0:1], v[4:5], s[8:9], v[0:1]
	v_add_f64 v[16:17], v[8:9], v[16:17]
	v_fma_f64 v[94:95], v[6:7], s[4:5], v[2:3]
	v_fma_f64 v[70:71], v[6:7], s[4:5], v[0:1]
	v_add_f64 v[0:1], v[12:13], v[20:21]
	v_add_f64 v[2:3], v[136:137], -v[56:57]
	v_add_f64 v[0:1], v[0:1], v[138:139]
	v_add_f64 v[0:1], v[0:1], v[50:51]
	;; [unrolled: 1-line block ×4, first 2 shown]
	v_add_f64 v[50:51], v[56:57], -v[52:53]
	v_fma_f64 v[0:1], v[0:1], -0.5, v[12:13]
	v_fma_f64 v[6:7], v[2:3], s[14:15], v[0:1]
	v_fma_f64 v[0:1], v[2:3], s[2:3], v[0:1]
	;; [unrolled: 1-line block ×5, first 2 shown]
	v_add_f64 v[6:7], v[20:21], v[54:55]
	v_fma_f64 v[0:1], v[16:17], s[4:5], v[0:1]
	v_add_f64 v[16:17], v[138:139], -v[20:21]
	v_add_f64 v[20:21], v[20:21], -v[54:55]
	v_fma_f64 v[6:7], v[6:7], -0.5, v[12:13]
	v_add_f64 v[18:19], v[16:17], v[18:19]
	v_fma_f64 v[12:13], v[10:11], s[2:3], v[6:7]
	v_fma_f64 v[6:7], v[10:11], s[14:15], v[6:7]
	;; [unrolled: 1-line block ×6, first 2 shown]
	v_add_f64 v[2:3], v[14:15], v[136:137]
	v_add_f64 v[18:19], v[136:137], -v[48:49]
	v_add_f64 v[2:3], v[2:3], v[48:49]
	v_add_f64 v[18:19], v[18:19], v[50:51]
	v_add_f64 v[50:51], v[52:53], -v[56:57]
	v_add_f64 v[2:3], v[2:3], v[52:53]
	v_add_f64 v[6:7], v[2:3], v[56:57]
	;; [unrolled: 1-line block ×3, first 2 shown]
	v_add_f64 v[48:49], v[48:49], -v[136:137]
	v_fma_f64 v[2:3], v[2:3], -0.5, v[14:15]
	v_add_f64 v[48:49], v[48:49], v[50:51]
	v_fma_f64 v[10:11], v[20:21], s[2:3], v[2:3]
	v_fma_f64 v[2:3], v[20:21], s[14:15], v[2:3]
	;; [unrolled: 1-line block ×6, first 2 shown]
	v_add_f64 v[18:19], v[136:137], v[56:57]
	v_fma_f64 v[14:15], v[18:19], -0.5, v[14:15]
	v_fma_f64 v[18:19], v[22:23], s[14:15], v[14:15]
	v_fma_f64 v[14:15], v[22:23], s[2:3], v[14:15]
	;; [unrolled: 1-line block ×4, first 2 shown]
	buffer_load_dword v20, off, s[24:27], 0 offset:444 ; 4-byte Folded Reload
	s_waitcnt vmcnt(0)
	ds_write_b128 v20, v[24:27]
	ds_write_b128 v20, v[28:31] offset:80
	ds_write_b128 v20, v[40:43] offset:160
	;; [unrolled: 1-line block ×4, first 2 shown]
	buffer_load_dword v20, off, s[24:27], 0 offset:392 ; 4-byte Folded Reload
	s_waitcnt vmcnt(0)
	ds_write_b128 v20, v[36:39]
	ds_write_b128 v20, v[60:63] offset:80
	ds_write_b128 v20, v[92:95] offset:160
	;; [unrolled: 1-line block ×4, first 2 shown]
	buffer_load_dword v20, off, s[24:27], 0 offset:380 ; 4-byte Folded Reload
	v_fma_f64 v[18:19], v[48:49], s[4:5], v[18:19]
	v_fma_f64 v[14:15], v[48:49], s[4:5], v[14:15]
	s_waitcnt vmcnt(0)
	ds_write_b128 v20, v[4:7]
	ds_write_b128 v20, v[8:11] offset:80
	ds_write_b128 v20, v[16:19] offset:160
	;; [unrolled: 1-line block ×4, first 2 shown]
	s_waitcnt lgkmcnt(0)
	s_barrier
	buffer_gl0_inv
	ds_read_b128 v[12:15], v76
	ds_read_b128 v[0:3], v76 offset:10800
	ds_read_b128 v[4:7], v76 offset:21600
	;; [unrolled: 1-line block ×14, first 2 shown]
	s_clause 0x7
	buffer_load_dword v62, off, s[24:27], 0 offset:328
	buffer_load_dword v63, off, s[24:27], 0 offset:332
	;; [unrolled: 1-line block ×8, first 2 shown]
	s_waitcnt vmcnt(4) lgkmcnt(13)
	v_mul_f64 v[60:61], v[64:65], v[2:3]
	v_fma_f64 v[60:61], v[62:63], v[0:1], v[60:61]
	v_mul_f64 v[0:1], v[64:65], v[0:1]
	v_fma_f64 v[62:63], v[62:63], v[2:3], -v[0:1]
	s_waitcnt vmcnt(0) lgkmcnt(12)
	v_mul_f64 v[0:1], v[68:69], v[6:7]
	v_fma_f64 v[64:65], v[66:67], v[4:5], v[0:1]
	v_mul_f64 v[0:1], v[68:69], v[4:5]
	s_clause 0x3
	buffer_load_dword v2, off, s[24:27], 0 offset:360
	buffer_load_dword v3, off, s[24:27], 0 offset:364
	;; [unrolled: 1-line block ×4, first 2 shown]
	v_fma_f64 v[66:67], v[66:67], v[6:7], -v[0:1]
	s_waitcnt vmcnt(0) lgkmcnt(11)
	v_mul_f64 v[0:1], v[4:5], v[10:11]
	v_fma_f64 v[6:7], v[2:3], v[8:9], v[0:1]
	v_mul_f64 v[0:1], v[4:5], v[8:9]
	v_add_f64 v[8:9], v[60:61], -v[64:65]
	v_fma_f64 v[68:69], v[2:3], v[10:11], -v[0:1]
	s_clause 0x3
	buffer_load_dword v2, off, s[24:27], 0 offset:344
	buffer_load_dword v3, off, s[24:27], 0 offset:348
	buffer_load_dword v4, off, s[24:27], 0 offset:352
	buffer_load_dword v5, off, s[24:27], 0 offset:356
	s_waitcnt vmcnt(0) lgkmcnt(0)
	s_barrier
	buffer_gl0_inv
	v_mul_f64 v[0:1], v[4:5], v[18:19]
	v_fma_f64 v[10:11], v[2:3], v[16:17], v[0:1]
	v_mul_f64 v[0:1], v[4:5], v[16:17]
	v_fma_f64 v[18:19], v[2:3], v[18:19], -v[0:1]
	v_mul_f64 v[0:1], v[122:123], v[26:27]
	v_add_f64 v[2:3], v[64:65], v[6:7]
	v_add_f64 v[16:17], v[62:63], -v[18:19]
	v_fma_f64 v[70:71], v[120:121], v[24:25], v[0:1]
	v_mul_f64 v[0:1], v[122:123], v[24:25]
	v_fma_f64 v[2:3], v[2:3], -0.5, v[12:13]
	v_fma_f64 v[24:25], v[120:121], v[26:27], -v[0:1]
	v_mul_f64 v[0:1], v[118:119], v[30:31]
	v_fma_f64 v[4:5], v[16:17], s[14:15], v[2:3]
	v_fma_f64 v[2:3], v[16:17], s[2:3], v[2:3]
	;; [unrolled: 1-line block ×3, first 2 shown]
	v_mul_f64 v[0:1], v[118:119], v[28:29]
	v_fma_f64 v[28:29], v[116:117], v[30:31], -v[0:1]
	v_mul_f64 v[0:1], v[114:115], v[38:39]
	v_fma_f64 v[30:31], v[112:113], v[36:37], v[0:1]
	v_mul_f64 v[0:1], v[114:115], v[36:37]
	v_fma_f64 v[36:37], v[112:113], v[38:39], -v[0:1]
	v_mul_f64 v[0:1], v[110:111], v[42:43]
	v_fma_f64 v[38:39], v[108:109], v[40:41], v[0:1]
	v_mul_f64 v[0:1], v[110:111], v[40:41]
	v_add_f64 v[40:41], v[66:67], -v[68:69]
	v_fma_f64 v[72:73], v[108:109], v[42:43], -v[0:1]
	v_mul_f64 v[0:1], v[154:155], v[46:47]
	v_add_f64 v[42:43], v[10:11], -v[6:7]
	v_fma_f64 v[4:5], v[40:41], s[8:9], v[4:5]
	v_fma_f64 v[2:3], v[40:41], s[6:7], v[2:3]
	;; [unrolled: 1-line block ×3, first 2 shown]
	v_mul_f64 v[0:1], v[154:155], v[44:45]
	v_add_f64 v[42:43], v[8:9], v[42:43]
	v_add_f64 v[44:45], v[6:7], -v[10:11]
	v_fma_f64 v[77:78], v[152:153], v[46:47], -v[0:1]
	v_mul_f64 v[0:1], v[150:151], v[50:51]
	v_fma_f64 v[8:9], v[42:43], s[4:5], v[4:5]
	v_fma_f64 v[4:5], v[42:43], s[4:5], v[2:3]
	v_add_f64 v[2:3], v[60:61], v[10:11]
	v_add_f64 v[42:43], v[64:65], -v[60:61]
	v_add_f64 v[46:47], v[18:19], -v[68:69]
	v_fma_f64 v[79:80], v[148:149], v[48:49], v[0:1]
	v_mul_f64 v[0:1], v[150:151], v[48:49]
	v_add_f64 v[48:49], v[70:71], -v[26:27]
	v_fma_f64 v[2:3], v[2:3], -0.5, v[12:13]
	v_add_f64 v[42:43], v[42:43], v[44:45]
	v_add_f64 v[44:45], v[64:65], -v[6:7]
	v_fma_f64 v[89:90], v[148:149], v[50:51], -v[0:1]
	v_mul_f64 v[0:1], v[146:147], v[54:55]
	v_add_f64 v[50:51], v[28:29], -v[36:37]
	v_fma_f64 v[91:92], v[144:145], v[52:53], v[0:1]
	v_mul_f64 v[0:1], v[146:147], v[52:53]
	v_add_f64 v[52:53], v[38:39], -v[30:31]
	v_fma_f64 v[93:94], v[144:145], v[54:55], -v[0:1]
	v_mul_f64 v[0:1], v[142:143], v[58:59]
	v_add_f64 v[52:53], v[48:49], v[52:53]
	v_add_f64 v[54:55], v[30:31], -v[38:39]
	v_fma_f64 v[108:109], v[140:141], v[56:57], v[0:1]
	v_mul_f64 v[0:1], v[142:143], v[56:57]
	v_fma_f64 v[110:111], v[140:141], v[58:59], -v[0:1]
	v_add_f64 v[0:1], v[12:13], v[60:61]
	v_fma_f64 v[12:13], v[40:41], s[2:3], v[2:3]
	v_fma_f64 v[2:3], v[40:41], s[14:15], v[2:3]
	v_add_f64 v[40:41], v[66:67], v[68:69]
	v_add_f64 v[0:1], v[0:1], v[64:65]
	v_fma_f64 v[12:13], v[16:17], s[8:9], v[12:13]
	v_fma_f64 v[2:3], v[16:17], s[6:7], v[2:3]
	v_fma_f64 v[40:41], v[40:41], -0.5, v[14:15]
	v_add_f64 v[64:65], v[110:111], -v[93:94]
	v_add_f64 v[0:1], v[0:1], v[6:7]
	v_fma_f64 v[12:13], v[42:43], s[4:5], v[12:13]
	v_fma_f64 v[16:17], v[42:43], s[4:5], v[2:3]
	v_add_f64 v[42:43], v[60:61], -v[10:11]
	v_add_f64 v[2:3], v[14:15], v[62:63]
	v_add_f64 v[60:61], v[79:80], -v[91:92]
	v_add_f64 v[0:1], v[0:1], v[10:11]
	v_fma_f64 v[10:11], v[42:43], s[2:3], v[40:41]
	v_add_f64 v[2:3], v[2:3], v[66:67]
	v_fma_f64 v[6:7], v[44:45], s[6:7], v[10:11]
	v_add_f64 v[10:11], v[62:63], -v[66:67]
	v_add_f64 v[2:3], v[2:3], v[68:69]
	v_add_f64 v[46:47], v[10:11], v[46:47]
	v_add_f64 v[2:3], v[2:3], v[18:19]
	v_fma_f64 v[10:11], v[46:47], s[4:5], v[6:7]
	v_fma_f64 v[6:7], v[42:43], s[14:15], v[40:41]
	v_add_f64 v[40:41], v[62:63], v[18:19]
	v_add_f64 v[18:19], v[68:69], -v[18:19]
	v_fma_f64 v[6:7], v[44:45], s[8:9], v[6:7]
	v_fma_f64 v[40:41], v[40:41], -0.5, v[14:15]
	v_fma_f64 v[6:7], v[46:47], s[4:5], v[6:7]
	v_fma_f64 v[14:15], v[44:45], s[14:15], v[40:41]
	;; [unrolled: 1-line block ×3, first 2 shown]
	v_add_f64 v[46:47], v[66:67], -v[62:63]
	v_add_f64 v[62:63], v[77:78], -v[89:90]
	v_add_f64 v[66:67], v[93:94], -v[110:111]
	v_fma_f64 v[14:15], v[42:43], s[6:7], v[14:15]
	v_fma_f64 v[40:41], v[42:43], s[8:9], v[40:41]
	v_add_f64 v[42:43], v[26:27], v[30:31]
	v_add_f64 v[18:19], v[46:47], v[18:19]
	v_add_f64 v[46:47], v[24:25], -v[72:73]
	v_add_f64 v[62:63], v[62:63], v[64:65]
	v_add_f64 v[64:65], v[89:90], -v[77:78]
	v_fma_f64 v[42:43], v[42:43], -0.5, v[20:21]
	v_fma_f64 v[14:15], v[18:19], s[4:5], v[14:15]
	v_fma_f64 v[18:19], v[18:19], s[4:5], v[40:41]
	v_add_f64 v[40:41], v[20:21], v[70:71]
	v_add_f64 v[64:65], v[64:65], v[66:67]
	v_fma_f64 v[44:45], v[46:47], s[14:15], v[42:43]
	v_fma_f64 v[42:43], v[46:47], s[2:3], v[42:43]
	v_add_f64 v[40:41], v[40:41], v[26:27]
	v_fma_f64 v[44:45], v[50:51], s[8:9], v[44:45]
	v_fma_f64 v[42:43], v[50:51], s[6:7], v[42:43]
	;; [unrolled: 3-line block ×3, first 2 shown]
	v_add_f64 v[42:43], v[70:71], v[38:39]
	v_add_f64 v[52:53], v[26:27], -v[70:71]
	v_add_f64 v[40:41], v[40:41], v[38:39]
	v_add_f64 v[38:39], v[70:71], -v[38:39]
	v_add_f64 v[26:27], v[26:27], -v[30:31]
	v_fma_f64 v[20:21], v[42:43], -0.5, v[20:21]
	v_add_f64 v[54:55], v[52:53], v[54:55]
	v_fma_f64 v[42:43], v[50:51], s[2:3], v[20:21]
	v_fma_f64 v[20:21], v[50:51], s[14:15], v[20:21]
	v_add_f64 v[50:51], v[72:73], -v[36:37]
	v_fma_f64 v[42:43], v[46:47], s[8:9], v[42:43]
	v_fma_f64 v[20:21], v[46:47], s[6:7], v[20:21]
	;; [unrolled: 1-line block ×4, first 2 shown]
	v_add_f64 v[20:21], v[22:23], v[24:25]
	v_add_f64 v[20:21], v[20:21], v[28:29]
	;; [unrolled: 1-line block ×5, first 2 shown]
	v_fma_f64 v[20:21], v[20:21], -0.5, v[22:23]
	v_fma_f64 v[46:47], v[38:39], s[2:3], v[20:21]
	v_fma_f64 v[20:21], v[38:39], s[14:15], v[20:21]
	;; [unrolled: 1-line block ×3, first 2 shown]
	v_add_f64 v[46:47], v[24:25], -v[28:29]
	v_fma_f64 v[20:21], v[26:27], s[8:9], v[20:21]
	v_add_f64 v[46:47], v[46:47], v[50:51]
	v_fma_f64 v[50:51], v[46:47], s[4:5], v[30:31]
	v_fma_f64 v[46:47], v[46:47], s[4:5], v[20:21]
	v_add_f64 v[20:21], v[24:25], v[72:73]
	v_add_f64 v[24:25], v[28:29], -v[24:25]
	v_add_f64 v[28:29], v[36:37], -v[72:73]
	;; [unrolled: 1-line block ×4, first 2 shown]
	v_fma_f64 v[20:21], v[20:21], -0.5, v[22:23]
	v_add_f64 v[24:25], v[24:25], v[28:29]
	v_add_f64 v[28:29], v[74:75], -v[79:80]
	v_fma_f64 v[22:23], v[26:27], s[14:15], v[20:21]
	v_fma_f64 v[20:21], v[26:27], s[2:3], v[20:21]
	v_add_f64 v[26:27], v[77:78], -v[110:111]
	v_add_f64 v[36:37], v[28:29], v[36:37]
	v_fma_f64 v[22:23], v[38:39], s[6:7], v[22:23]
	v_fma_f64 v[20:21], v[38:39], s[8:9], v[20:21]
	v_add_f64 v[38:39], v[91:92], -v[108:109]
	v_fma_f64 v[54:55], v[24:25], s[4:5], v[22:23]
	v_add_f64 v[22:23], v[79:80], v[91:92]
	v_fma_f64 v[58:59], v[24:25], s[4:5], v[20:21]
	v_add_f64 v[20:21], v[32:33], v[74:75]
	v_fma_f64 v[22:23], v[22:23], -0.5, v[32:33]
	v_add_f64 v[20:21], v[20:21], v[79:80]
	v_fma_f64 v[24:25], v[26:27], s[14:15], v[22:23]
	v_fma_f64 v[22:23], v[26:27], s[2:3], v[22:23]
	v_add_f64 v[20:21], v[20:21], v[91:92]
	v_fma_f64 v[24:25], v[30:31], s[8:9], v[24:25]
	v_fma_f64 v[22:23], v[30:31], s[6:7], v[22:23]
	;; [unrolled: 3-line block ×3, first 2 shown]
	v_add_f64 v[22:23], v[74:75], v[108:109]
	v_add_f64 v[36:37], v[79:80], -v[74:75]
	v_fma_f64 v[22:23], v[22:23], -0.5, v[32:33]
	v_add_f64 v[36:37], v[36:37], v[38:39]
	v_add_f64 v[38:39], v[74:75], -v[108:109]
	v_fma_f64 v[32:33], v[30:31], s[2:3], v[22:23]
	v_fma_f64 v[22:23], v[30:31], s[14:15], v[22:23]
	;; [unrolled: 1-line block ×4, first 2 shown]
	v_add_f64 v[26:27], v[89:90], v[93:94]
	v_fma_f64 v[32:33], v[36:37], s[4:5], v[32:33]
	v_fma_f64 v[36:37], v[36:37], s[4:5], v[22:23]
	v_fma_f64 v[26:27], v[26:27], -0.5, v[34:35]
	v_add_f64 v[22:23], v[34:35], v[77:78]
	v_fma_f64 v[30:31], v[38:39], s[2:3], v[26:27]
	v_fma_f64 v[26:27], v[38:39], s[14:15], v[26:27]
	v_add_f64 v[22:23], v[22:23], v[89:90]
	v_fma_f64 v[30:31], v[60:61], s[6:7], v[30:31]
	v_fma_f64 v[26:27], v[60:61], s[8:9], v[26:27]
	;; [unrolled: 3-line block ×3, first 2 shown]
	v_add_f64 v[62:63], v[77:78], v[110:111]
	v_add_f64 v[22:23], v[22:23], v[110:111]
	v_fma_f64 v[62:63], v[62:63], -0.5, v[34:35]
	v_fma_f64 v[34:35], v[60:61], s[14:15], v[62:63]
	v_fma_f64 v[60:61], v[60:61], s[2:3], v[62:63]
	s_mov_b32 s2, 0xe70b7421
	s_mov_b32 s3, 0x3f336b06
	v_fma_f64 v[34:35], v[38:39], s[6:7], v[34:35]
	v_fma_f64 v[38:39], v[38:39], s[8:9], v[60:61]
	buffer_load_dword v60, off, s[24:27], 0 offset:460 ; 4-byte Folded Reload
	s_waitcnt vmcnt(0)
	ds_write_b128 v60, v[0:3]
	ds_write_b128 v60, v[8:11] offset:400
	ds_write_b128 v60, v[12:15] offset:800
	;; [unrolled: 1-line block ×4, first 2 shown]
	buffer_load_dword v0, off, s[24:27], 0 offset:452 ; 4-byte Folded Reload
	s_waitcnt vmcnt(0)
	ds_write_b128 v0, v[40:43]
	ds_write_b128 v0, v[48:51] offset:400
	ds_write_b128 v0, v[52:55] offset:800
	ds_write_b128 v0, v[56:59] offset:1200
	ds_write_b128 v0, v[44:47] offset:1600
	buffer_load_dword v0, off, s[24:27], 0 offset:448 ; 4-byte Folded Reload
	v_fma_f64 v[34:35], v[64:65], s[4:5], v[34:35]
	v_fma_f64 v[38:39], v[64:65], s[4:5], v[38:39]
	s_waitcnt vmcnt(0)
	ds_write_b128 v0, v[20:23]
	ds_write_b128 v0, v[28:31] offset:400
	ds_write_b128 v0, v[32:35] offset:800
	;; [unrolled: 1-line block ×4, first 2 shown]
	s_waitcnt lgkmcnt(0)
	s_barrier
	buffer_gl0_inv
	ds_read_b128 v[0:3], v76
	ds_read_b128 v[4:7], v76 offset:18000
	ds_read_b128 v[8:11], v76 offset:36000
	;; [unrolled: 1-line block ×14, first 2 shown]
	s_waitcnt lgkmcnt(0)
	s_barrier
	buffer_gl0_inv
	s_mul_i32 s4, s1, 0x2a30
	s_mul_hi_u32 s5, s0, 0x2a30
	v_mul_f64 v[60:61], v[162:163], v[6:7]
	s_add_i32 s4, s5, s4
	s_mul_i32 s5, s0, 0x2a30
	v_fma_f64 v[60:61], v[160:161], v[4:5], v[60:61]
	v_mul_f64 v[4:5], v[162:163], v[4:5]
	v_fma_f64 v[62:63], v[160:161], v[6:7], -v[4:5]
	v_mul_f64 v[4:5], v[158:159], v[10:11]
	v_fma_f64 v[64:65], v[156:157], v[8:9], v[4:5]
	v_mul_f64 v[4:5], v[158:159], v[8:9]
	v_add_f64 v[6:7], v[60:61], v[64:65]
	v_fma_f64 v[10:11], v[156:157], v[10:11], -v[4:5]
	v_mul_f64 v[4:5], v[170:171], v[18:19]
	v_fma_f64 v[6:7], v[6:7], -0.5, v[0:1]
	v_add_f64 v[8:9], v[62:63], -v[10:11]
	v_fma_f64 v[66:67], v[168:169], v[16:17], v[4:5]
	v_mul_f64 v[4:5], v[170:171], v[16:17]
	v_add_f64 v[16:17], v[60:61], -v[64:65]
	v_fma_f64 v[68:69], v[168:169], v[18:19], -v[4:5]
	v_mul_f64 v[4:5], v[166:167], v[22:23]
	v_fma_f64 v[70:71], v[164:165], v[20:21], v[4:5]
	v_mul_f64 v[4:5], v[166:167], v[20:21]
	v_add_f64 v[18:19], v[66:67], v[70:71]
	v_fma_f64 v[22:23], v[164:165], v[22:23], -v[4:5]
	v_mul_f64 v[4:5], v[178:179], v[30:31]
	v_fma_f64 v[18:19], v[18:19], -0.5, v[12:13]
	v_add_f64 v[20:21], v[68:69], -v[22:23]
	v_fma_f64 v[72:73], v[176:177], v[28:29], v[4:5]
	v_mul_f64 v[4:5], v[178:179], v[28:29]
	v_add_f64 v[28:29], v[66:67], -v[70:71]
	;; [unrolled: 12-line block ×4, first 2 shown]
	v_fma_f64 v[108:109], v[192:193], v[54:55], -v[4:5]
	v_mul_f64 v[4:5], v[190:191], v[58:59]
	v_fma_f64 v[110:111], v[188:189], v[56:57], v[4:5]
	v_mul_f64 v[4:5], v[190:191], v[56:57]
	v_add_f64 v[54:55], v[93:94], v[110:111]
	v_fma_f64 v[58:59], v[188:189], v[58:59], -v[4:5]
	v_add_f64 v[4:5], v[0:1], v[60:61]
	v_fma_f64 v[0:1], v[8:9], s[18:19], v[6:7]
	v_fma_f64 v[8:9], v[8:9], s[16:17], v[6:7]
	v_add_f64 v[6:7], v[2:3], v[62:63]
	v_add_f64 v[60:61], v[93:94], -v[110:111]
	v_fma_f64 v[54:55], v[54:55], -0.5, v[48:49]
	v_add_f64 v[56:57], v[108:109], -v[58:59]
	v_add_f64 v[4:5], v[4:5], v[64:65]
	v_add_f64 v[6:7], v[6:7], v[10:11]
	v_add_f64 v[10:11], v[62:63], v[10:11]
	v_fma_f64 v[10:11], v[10:11], -0.5, v[2:3]
	v_fma_f64 v[2:3], v[16:17], s[16:17], v[10:11]
	v_fma_f64 v[10:11], v[16:17], s[18:19], v[10:11]
	v_add_f64 v[16:17], v[12:13], v[66:67]
	v_fma_f64 v[12:13], v[20:21], s[18:19], v[18:19]
	v_fma_f64 v[20:21], v[20:21], s[16:17], v[18:19]
	v_add_f64 v[18:19], v[14:15], v[68:69]
	v_add_f64 v[16:17], v[16:17], v[70:71]
	v_add_f64 v[18:19], v[18:19], v[22:23]
	v_add_f64 v[22:23], v[68:69], v[22:23]
	v_fma_f64 v[22:23], v[22:23], -0.5, v[14:15]
	v_fma_f64 v[14:15], v[28:29], s[16:17], v[22:23]
	v_fma_f64 v[22:23], v[28:29], s[18:19], v[22:23]
	v_add_f64 v[28:29], v[24:25], v[72:73]
	v_fma_f64 v[24:25], v[32:33], s[18:19], v[30:31]
	v_fma_f64 v[32:33], v[32:33], s[16:17], v[30:31]
	v_add_f64 v[30:31], v[26:27], v[74:75]
	;; [unrolled: 10-line block ×4, first 2 shown]
	v_add_f64 v[52:53], v[52:53], v[110:111]
	v_add_f64 v[54:55], v[54:55], v[58:59]
	;; [unrolled: 1-line block ×3, first 2 shown]
	v_fma_f64 v[58:59], v[58:59], -0.5, v[50:51]
	v_fma_f64 v[50:51], v[60:61], s[16:17], v[58:59]
	v_fma_f64 v[58:59], v[60:61], s[18:19], v[58:59]
	buffer_load_dword v60, off, s[24:27], 0 offset:480 ; 4-byte Folded Reload
	s_waitcnt vmcnt(0)
	ds_write_b128 v60, v[4:7]
	ds_write_b128 v60, v[0:3] offset:2000
	ds_write_b128 v60, v[8:11] offset:4000
	buffer_load_dword v0, off, s[24:27], 0 offset:476 ; 4-byte Folded Reload
	s_waitcnt vmcnt(0)
	ds_write_b128 v0, v[16:19]
	ds_write_b128 v0, v[12:15] offset:2000
	ds_write_b128 v0, v[20:23] offset:4000
	;; [unrolled: 5-line block ×5, first 2 shown]
	s_waitcnt lgkmcnt(0)
	s_barrier
	buffer_gl0_inv
	ds_read_b128 v[0:3], v76
	ds_read_b128 v[4:7], v76 offset:18000
	ds_read_b128 v[8:11], v76 offset:36000
	ds_read_b128 v[12:15], v76 offset:3600
	ds_read_b128 v[16:19], v76 offset:21600
	ds_read_b128 v[20:23], v76 offset:39600
	ds_read_b128 v[24:27], v76 offset:7200
	ds_read_b128 v[28:31], v76 offset:25200
	ds_read_b128 v[32:35], v76 offset:43200
	ds_read_b128 v[36:39], v76 offset:10800
	ds_read_b128 v[40:43], v76 offset:28800
	ds_read_b128 v[44:47], v76 offset:46800
	ds_read_b128 v[48:51], v76 offset:14400
	ds_read_b128 v[52:55], v76 offset:32400
	ds_read_b128 v[56:59], v76 offset:50400
	s_waitcnt lgkmcnt(0)
	s_barrier
	buffer_gl0_inv
	v_mul_f64 v[60:61], v[202:203], v[6:7]
	v_fma_f64 v[60:61], v[200:201], v[4:5], v[60:61]
	v_mul_f64 v[4:5], v[202:203], v[4:5]
	v_fma_f64 v[62:63], v[200:201], v[6:7], -v[4:5]
	v_mul_f64 v[4:5], v[198:199], v[10:11]
	v_fma_f64 v[64:65], v[196:197], v[8:9], v[4:5]
	v_mul_f64 v[4:5], v[198:199], v[8:9]
	v_add_f64 v[6:7], v[60:61], v[64:65]
	v_fma_f64 v[10:11], v[196:197], v[10:11], -v[4:5]
	v_mul_f64 v[4:5], v[210:211], v[18:19]
	v_fma_f64 v[6:7], v[6:7], -0.5, v[0:1]
	v_add_f64 v[8:9], v[62:63], -v[10:11]
	v_fma_f64 v[66:67], v[208:209], v[16:17], v[4:5]
	v_mul_f64 v[4:5], v[210:211], v[16:17]
	v_add_f64 v[16:17], v[60:61], -v[64:65]
	v_fma_f64 v[68:69], v[208:209], v[18:19], -v[4:5]
	v_mul_f64 v[4:5], v[206:207], v[22:23]
	v_fma_f64 v[70:71], v[204:205], v[20:21], v[4:5]
	v_mul_f64 v[4:5], v[206:207], v[20:21]
	v_add_f64 v[18:19], v[66:67], v[70:71]
	v_fma_f64 v[22:23], v[204:205], v[22:23], -v[4:5]
	v_mul_f64 v[4:5], v[218:219], v[30:31]
	v_fma_f64 v[18:19], v[18:19], -0.5, v[12:13]
	v_add_f64 v[20:21], v[68:69], -v[22:23]
	v_fma_f64 v[72:73], v[216:217], v[28:29], v[4:5]
	v_mul_f64 v[4:5], v[218:219], v[28:29]
	v_add_f64 v[28:29], v[66:67], -v[70:71]
	v_fma_f64 v[74:75], v[216:217], v[30:31], -v[4:5]
	v_mul_f64 v[4:5], v[214:215], v[34:35]
	v_fma_f64 v[77:78], v[212:213], v[32:33], v[4:5]
	v_mul_f64 v[4:5], v[214:215], v[32:33]
	v_add_f64 v[30:31], v[72:73], v[77:78]
	v_fma_f64 v[34:35], v[212:213], v[34:35], -v[4:5]
	v_mul_f64 v[4:5], v[226:227], v[42:43]
	v_fma_f64 v[30:31], v[30:31], -0.5, v[24:25]
	v_add_f64 v[32:33], v[74:75], -v[34:35]
	v_fma_f64 v[79:80], v[224:225], v[40:41], v[4:5]
	v_mul_f64 v[4:5], v[226:227], v[40:41]
	v_add_f64 v[40:41], v[72:73], -v[77:78]
	v_fma_f64 v[89:90], v[224:225], v[42:43], -v[4:5]
	v_mul_f64 v[4:5], v[222:223], v[46:47]
	v_fma_f64 v[91:92], v[220:221], v[44:45], v[4:5]
	v_mul_f64 v[4:5], v[222:223], v[44:45]
	v_add_f64 v[42:43], v[79:80], v[91:92]
	v_fma_f64 v[46:47], v[220:221], v[46:47], -v[4:5]
	v_mul_f64 v[4:5], v[234:235], v[54:55]
	v_fma_f64 v[42:43], v[42:43], -0.5, v[36:37]
	v_add_f64 v[44:45], v[89:90], -v[46:47]
	v_fma_f64 v[93:94], v[232:233], v[52:53], v[4:5]
	v_mul_f64 v[4:5], v[234:235], v[52:53]
	v_add_f64 v[52:53], v[79:80], -v[91:92]
	v_fma_f64 v[108:109], v[232:233], v[54:55], -v[4:5]
	v_mul_f64 v[4:5], v[230:231], v[58:59]
	v_fma_f64 v[110:111], v[228:229], v[56:57], v[4:5]
	v_mul_f64 v[4:5], v[230:231], v[56:57]
	v_add_f64 v[54:55], v[93:94], v[110:111]
	v_fma_f64 v[58:59], v[228:229], v[58:59], -v[4:5]
	v_add_f64 v[4:5], v[0:1], v[60:61]
	v_fma_f64 v[0:1], v[8:9], s[18:19], v[6:7]
	v_fma_f64 v[8:9], v[8:9], s[16:17], v[6:7]
	v_add_f64 v[6:7], v[2:3], v[62:63]
	v_add_f64 v[60:61], v[93:94], -v[110:111]
	v_fma_f64 v[54:55], v[54:55], -0.5, v[48:49]
	v_add_f64 v[56:57], v[108:109], -v[58:59]
	v_add_f64 v[4:5], v[4:5], v[64:65]
	v_add_f64 v[6:7], v[6:7], v[10:11]
	v_add_f64 v[10:11], v[62:63], v[10:11]
	v_fma_f64 v[10:11], v[10:11], -0.5, v[2:3]
	v_fma_f64 v[2:3], v[16:17], s[16:17], v[10:11]
	v_fma_f64 v[10:11], v[16:17], s[18:19], v[10:11]
	ds_write_b128 v76, v[4:7]
	ds_write_b128 v76, v[0:3] offset:6000
	ds_write_b128 v76, v[8:11] offset:12000
	buffer_load_dword v0, off, s[24:27], 0 offset:492 ; 4-byte Folded Reload
	v_add_f64 v[16:17], v[12:13], v[66:67]
	v_fma_f64 v[12:13], v[20:21], s[18:19], v[18:19]
	v_fma_f64 v[20:21], v[20:21], s[16:17], v[18:19]
	v_add_f64 v[18:19], v[14:15], v[68:69]
	v_add_f64 v[16:17], v[16:17], v[70:71]
	;; [unrolled: 1-line block ×4, first 2 shown]
	v_fma_f64 v[22:23], v[22:23], -0.5, v[14:15]
	v_fma_f64 v[14:15], v[28:29], s[16:17], v[22:23]
	v_fma_f64 v[22:23], v[28:29], s[18:19], v[22:23]
	v_add_f64 v[28:29], v[24:25], v[72:73]
	v_fma_f64 v[24:25], v[32:33], s[18:19], v[30:31]
	v_fma_f64 v[32:33], v[32:33], s[16:17], v[30:31]
	v_add_f64 v[30:31], v[26:27], v[74:75]
	v_add_f64 v[28:29], v[28:29], v[77:78]
	;; [unrolled: 1-line block ×4, first 2 shown]
	v_fma_f64 v[34:35], v[34:35], -0.5, v[26:27]
	v_fma_f64 v[26:27], v[40:41], s[16:17], v[34:35]
	v_fma_f64 v[34:35], v[40:41], s[18:19], v[34:35]
	s_waitcnt vmcnt(0)
	ds_write_b128 v0, v[16:19]
	ds_write_b128 v0, v[12:15] offset:6000
	ds_write_b128 v0, v[20:23] offset:12000
	;; [unrolled: 1-line block ×5, first 2 shown]
	buffer_load_dword v0, off, s[24:27], 0 offset:488 ; 4-byte Folded Reload
	v_add_f64 v[40:41], v[36:37], v[79:80]
	v_fma_f64 v[36:37], v[44:45], s[18:19], v[42:43]
	v_fma_f64 v[44:45], v[44:45], s[16:17], v[42:43]
	v_add_f64 v[42:43], v[38:39], v[89:90]
	v_add_f64 v[40:41], v[40:41], v[91:92]
	;; [unrolled: 1-line block ×4, first 2 shown]
	v_fma_f64 v[46:47], v[46:47], -0.5, v[38:39]
	v_fma_f64 v[38:39], v[52:53], s[16:17], v[46:47]
	v_fma_f64 v[46:47], v[52:53], s[18:19], v[46:47]
	s_waitcnt vmcnt(0)
	ds_write_b128 v0, v[40:43]
	ds_write_b128 v0, v[36:39] offset:6000
	ds_write_b128 v0, v[44:47] offset:12000
	buffer_load_dword v0, off, s[24:27], 0 offset:484 ; 4-byte Folded Reload
	v_add_f64 v[52:53], v[48:49], v[93:94]
	v_fma_f64 v[48:49], v[56:57], s[18:19], v[54:55]
	v_fma_f64 v[56:57], v[56:57], s[16:17], v[54:55]
	v_add_f64 v[54:55], v[50:51], v[108:109]
	v_add_f64 v[52:53], v[52:53], v[110:111]
	;; [unrolled: 1-line block ×4, first 2 shown]
	v_fma_f64 v[58:59], v[58:59], -0.5, v[50:51]
	v_fma_f64 v[50:51], v[60:61], s[16:17], v[58:59]
	v_fma_f64 v[58:59], v[60:61], s[18:19], v[58:59]
	s_waitcnt vmcnt(0)
	ds_write_b128 v0, v[52:55] offset:36000
	ds_write_b128 v0, v[48:51] offset:42000
	;; [unrolled: 1-line block ×3, first 2 shown]
	s_waitcnt lgkmcnt(0)
	s_barrier
	buffer_gl0_inv
	ds_read_b128 v[0:3], v76
	ds_read_b128 v[4:7], v76 offset:18000
	ds_read_b128 v[8:11], v76 offset:36000
	ds_read_b128 v[12:15], v76 offset:3600
	ds_read_b128 v[16:19], v76 offset:21600
	ds_read_b128 v[20:23], v76 offset:39600
	ds_read_b128 v[24:27], v76 offset:7200
	ds_read_b128 v[28:31], v76 offset:25200
	ds_read_b128 v[32:35], v76 offset:43200
	ds_read_b128 v[36:39], v76 offset:10800
	ds_read_b128 v[40:43], v76 offset:28800
	ds_read_b128 v[44:47], v76 offset:46800
	ds_read_b128 v[48:51], v76 offset:14400
	ds_read_b128 v[52:55], v76 offset:32400
	ds_read_b128 v[56:59], v76 offset:50400
	s_waitcnt lgkmcnt(13)
	v_mul_f64 v[60:61], v[242:243], v[6:7]
	v_fma_f64 v[60:61], v[240:241], v[4:5], v[60:61]
	v_mul_f64 v[4:5], v[242:243], v[4:5]
	v_fma_f64 v[62:63], v[240:241], v[6:7], -v[4:5]
	s_waitcnt lgkmcnt(12)
	v_mul_f64 v[4:5], v[238:239], v[10:11]
	v_fma_f64 v[64:65], v[236:237], v[8:9], v[4:5]
	v_mul_f64 v[4:5], v[238:239], v[8:9]
	v_add_f64 v[6:7], v[60:61], v[64:65]
	v_fma_f64 v[10:11], v[236:237], v[10:11], -v[4:5]
	s_waitcnt lgkmcnt(10)
	v_mul_f64 v[4:5], v[250:251], v[18:19]
	v_fma_f64 v[6:7], v[6:7], -0.5, v[0:1]
	v_add_f64 v[8:9], v[62:63], -v[10:11]
	v_fma_f64 v[66:67], v[248:249], v[16:17], v[4:5]
	v_mul_f64 v[4:5], v[250:251], v[16:17]
	v_add_f64 v[16:17], v[60:61], -v[64:65]
	v_fma_f64 v[68:69], v[248:249], v[18:19], -v[4:5]
	s_waitcnt lgkmcnt(9)
	v_mul_f64 v[4:5], v[246:247], v[22:23]
	v_fma_f64 v[70:71], v[244:245], v[20:21], v[4:5]
	v_mul_f64 v[4:5], v[246:247], v[20:21]
	v_add_f64 v[18:19], v[66:67], v[70:71]
	v_fma_f64 v[22:23], v[244:245], v[22:23], -v[4:5]
	s_waitcnt lgkmcnt(7)
	v_mul_f64 v[4:5], v[106:107], v[30:31]
	v_fma_f64 v[18:19], v[18:19], -0.5, v[12:13]
	v_add_f64 v[20:21], v[68:69], -v[22:23]
	v_fma_f64 v[72:73], v[104:105], v[28:29], v[4:5]
	v_mul_f64 v[4:5], v[106:107], v[28:29]
	v_add_f64 v[28:29], v[66:67], -v[70:71]
	;; [unrolled: 14-line block ×4, first 2 shown]
	v_fma_f64 v[81:82], v[81:82], v[54:55], -v[4:5]
	s_waitcnt lgkmcnt(0)
	v_mul_f64 v[4:5], v[87:88], v[58:59]
	v_fma_f64 v[83:84], v[85:86], v[56:57], v[4:5]
	v_mul_f64 v[4:5], v[87:88], v[56:57]
	v_add_f64 v[54:55], v[93:94], v[83:84]
	v_fma_f64 v[58:59], v[85:86], v[58:59], -v[4:5]
	v_add_f64 v[4:5], v[0:1], v[60:61]
	v_fma_f64 v[0:1], v[8:9], s[18:19], v[6:7]
	v_fma_f64 v[8:9], v[8:9], s[16:17], v[6:7]
	v_add_f64 v[6:7], v[2:3], v[62:63]
	v_add_f64 v[60:61], v[93:94], -v[83:84]
	v_fma_f64 v[54:55], v[54:55], -0.5, v[48:49]
	v_add_f64 v[56:57], v[81:82], -v[58:59]
	v_add_f64 v[4:5], v[4:5], v[64:65]
	v_add_f64 v[6:7], v[6:7], v[10:11]
	v_add_f64 v[10:11], v[62:63], v[10:11]
	v_fma_f64 v[10:11], v[10:11], -0.5, v[2:3]
	v_fma_f64 v[2:3], v[16:17], s[16:17], v[10:11]
	v_fma_f64 v[10:11], v[16:17], s[18:19], v[10:11]
	v_add_f64 v[16:17], v[12:13], v[66:67]
	v_fma_f64 v[12:13], v[20:21], s[18:19], v[18:19]
	v_fma_f64 v[20:21], v[20:21], s[16:17], v[18:19]
	v_add_f64 v[18:19], v[14:15], v[68:69]
	v_add_f64 v[16:17], v[16:17], v[70:71]
	v_add_f64 v[18:19], v[18:19], v[22:23]
	v_add_f64 v[22:23], v[68:69], v[22:23]
	v_fma_f64 v[22:23], v[22:23], -0.5, v[14:15]
	v_fma_f64 v[14:15], v[28:29], s[16:17], v[22:23]
	v_fma_f64 v[22:23], v[28:29], s[18:19], v[22:23]
	v_add_f64 v[28:29], v[24:25], v[72:73]
	v_fma_f64 v[24:25], v[32:33], s[18:19], v[30:31]
	v_fma_f64 v[32:33], v[32:33], s[16:17], v[30:31]
	v_add_f64 v[30:31], v[26:27], v[74:75]
	;; [unrolled: 10-line block ×4, first 2 shown]
	v_add_f64 v[52:53], v[52:53], v[83:84]
	v_add_f64 v[54:55], v[54:55], v[58:59]
	v_add_f64 v[58:59], v[81:82], v[58:59]
	v_fma_f64 v[58:59], v[58:59], -0.5, v[50:51]
	v_fma_f64 v[50:51], v[60:61], s[16:17], v[58:59]
	v_fma_f64 v[58:59], v[60:61], s[18:19], v[58:59]
	ds_write_b128 v76, v[4:7]
	ds_write_b128 v76, v[0:3] offset:18000
	ds_write_b128 v76, v[8:11] offset:36000
	;; [unrolled: 1-line block ×14, first 2 shown]
	s_waitcnt lgkmcnt(0)
	s_barrier
	buffer_gl0_inv
	ds_read_b128 v[0:3], v76
	s_clause 0x3
	buffer_load_dword v8, off, s[24:27], 0 offset:216
	buffer_load_dword v9, off, s[24:27], 0 offset:220
	;; [unrolled: 1-line block ×4, first 2 shown]
	s_waitcnt vmcnt(0) lgkmcnt(0)
	v_mul_f64 v[4:5], v[10:11], v[2:3]
	v_fma_f64 v[4:5], v[8:9], v[0:1], v[4:5]
	v_mul_f64 v[0:1], v[10:11], v[0:1]
	v_mul_f64 v[6:7], v[4:5], s[2:3]
	v_fma_f64 v[0:1], v[8:9], v[2:3], -v[0:1]
	buffer_load_dword v2, off, s[24:27], 0 offset:456 ; 4-byte Folded Reload
	v_mul_f64 v[8:9], v[0:1], s[2:3]
	s_waitcnt vmcnt(0)
	v_mad_u64_u32 v[0:1], null, s0, v2, 0
	v_mad_u64_u32 v[1:2], null, s1, v2, v[1:2]
	s_clause 0x1
	buffer_load_dword v2, off, s[24:27], 0 offset:208
	buffer_load_dword v3, off, s[24:27], 0 offset:212
	s_mul_i32 s1, s1, 0xffff6550
	s_sub_i32 s1, s1, s0
	v_lshlrev_b64 v[0:1], 4, v[0:1]
	s_waitcnt vmcnt(0)
	v_lshlrev_b64 v[2:3], 4, v[2:3]
	v_add_co_u32 v2, vcc_lo, s12, v2
	v_add_co_ci_u32_e32 v3, vcc_lo, s13, v3, vcc_lo
	v_add_co_u32 v4, vcc_lo, v2, v0
	v_add_co_ci_u32_e32 v5, vcc_lo, v3, v1, vcc_lo
	global_store_dwordx4 v[4:5], v[6:9], off
	ds_read_b128 v[6:9], v76 offset:10800
	s_clause 0x3
	buffer_load_dword v10, off, s[24:27], 0 offset:232
	buffer_load_dword v11, off, s[24:27], 0 offset:236
	;; [unrolled: 1-line block ×4, first 2 shown]
	s_waitcnt vmcnt(0) lgkmcnt(0)
	v_mul_f64 v[0:1], v[12:13], v[8:9]
	v_mul_f64 v[2:3], v[12:13], v[6:7]
	v_fma_f64 v[0:1], v[10:11], v[6:7], v[0:1]
	v_fma_f64 v[2:3], v[10:11], v[8:9], -v[2:3]
	v_add_co_u32 v8, vcc_lo, v4, s5
	v_add_co_ci_u32_e32 v9, vcc_lo, s4, v5, vcc_lo
	v_mul_f64 v[0:1], v[0:1], s[2:3]
	v_mul_f64 v[2:3], v[2:3], s[2:3]
	global_store_dwordx4 v[8:9], v[0:3], off
	ds_read_b128 v[0:3], v76 offset:21600
	s_clause 0x3
	buffer_load_dword v10, off, s[24:27], 0 offset:64
	buffer_load_dword v11, off, s[24:27], 0 offset:68
	buffer_load_dword v12, off, s[24:27], 0 offset:72
	buffer_load_dword v13, off, s[24:27], 0 offset:76
	v_add_co_u32 v8, vcc_lo, v8, s5
	v_add_co_ci_u32_e32 v9, vcc_lo, s4, v9, vcc_lo
	s_waitcnt vmcnt(0) lgkmcnt(0)
	v_mul_f64 v[4:5], v[12:13], v[2:3]
	v_fma_f64 v[4:5], v[10:11], v[0:1], v[4:5]
	v_mul_f64 v[0:1], v[12:13], v[0:1]
	v_mul_f64 v[4:5], v[4:5], s[2:3]
	v_fma_f64 v[0:1], v[10:11], v[2:3], -v[0:1]
	v_mul_f64 v[6:7], v[0:1], s[2:3]
	ds_read_b128 v[0:3], v76 offset:32400
	global_store_dwordx4 v[8:9], v[4:7], off
	s_clause 0x3
	buffer_load_dword v10, off, s[24:27], 0 offset:112
	buffer_load_dword v11, off, s[24:27], 0 offset:116
	buffer_load_dword v12, off, s[24:27], 0 offset:120
	buffer_load_dword v13, off, s[24:27], 0 offset:124
	v_add_co_u32 v8, vcc_lo, v8, s5
	v_add_co_ci_u32_e32 v9, vcc_lo, s4, v9, vcc_lo
	s_waitcnt vmcnt(0) lgkmcnt(0)
	v_mul_f64 v[4:5], v[12:13], v[2:3]
	v_fma_f64 v[4:5], v[10:11], v[0:1], v[4:5]
	v_mul_f64 v[0:1], v[12:13], v[0:1]
	v_mul_f64 v[4:5], v[4:5], s[2:3]
	v_fma_f64 v[0:1], v[10:11], v[2:3], -v[0:1]
	v_mul_f64 v[6:7], v[0:1], s[2:3]
	ds_read_b128 v[0:3], v76 offset:43200
	global_store_dwordx4 v[8:9], v[4:7], off
	s_clause 0x3
	buffer_load_dword v10, off, s[24:27], 0 offset:144
	buffer_load_dword v11, off, s[24:27], 0 offset:148
	buffer_load_dword v12, off, s[24:27], 0 offset:152
	buffer_load_dword v13, off, s[24:27], 0 offset:156
	v_add_co_u32 v8, vcc_lo, v8, s5
	v_add_co_ci_u32_e32 v9, vcc_lo, s4, v9, vcc_lo
	s_waitcnt vmcnt(0) lgkmcnt(0)
	v_mul_f64 v[4:5], v[12:13], v[2:3]
	v_fma_f64 v[4:5], v[10:11], v[0:1], v[4:5]
	v_mul_f64 v[0:1], v[12:13], v[0:1]
	v_mul_f64 v[4:5], v[4:5], s[2:3]
	v_fma_f64 v[0:1], v[10:11], v[2:3], -v[0:1]
	v_mul_f64 v[6:7], v[0:1], s[2:3]
	ds_read_b128 v[0:3], v76 offset:3600
	global_store_dwordx4 v[8:9], v[4:7], off
	s_clause 0x3
	buffer_load_dword v10, off, s[24:27], 0 offset:160
	buffer_load_dword v11, off, s[24:27], 0 offset:164
	;; [unrolled: 1-line block ×4, first 2 shown]
	v_mad_u64_u32 v[8:9], null, 0xffff6550, s0, v[8:9]
	v_add_nc_u32_e32 v9, s1, v9
	s_waitcnt vmcnt(0) lgkmcnt(0)
	v_mul_f64 v[4:5], v[12:13], v[2:3]
	v_fma_f64 v[4:5], v[10:11], v[0:1], v[4:5]
	v_mul_f64 v[0:1], v[12:13], v[0:1]
	v_mul_f64 v[4:5], v[4:5], s[2:3]
	v_fma_f64 v[0:1], v[10:11], v[2:3], -v[0:1]
	v_mul_f64 v[6:7], v[0:1], s[2:3]
	ds_read_b128 v[0:3], v76 offset:14400
	global_store_dwordx4 v[8:9], v[4:7], off
	s_clause 0x3
	buffer_load_dword v10, off, s[24:27], 0 offset:16
	buffer_load_dword v11, off, s[24:27], 0 offset:20
	buffer_load_dword v12, off, s[24:27], 0 offset:24
	buffer_load_dword v13, off, s[24:27], 0 offset:28
	v_add_co_u32 v8, vcc_lo, v8, s5
	v_add_co_ci_u32_e32 v9, vcc_lo, s4, v9, vcc_lo
	s_waitcnt vmcnt(0) lgkmcnt(0)
	v_mul_f64 v[4:5], v[12:13], v[2:3]
	v_fma_f64 v[4:5], v[10:11], v[0:1], v[4:5]
	v_mul_f64 v[0:1], v[12:13], v[0:1]
	v_mul_f64 v[4:5], v[4:5], s[2:3]
	v_fma_f64 v[0:1], v[10:11], v[2:3], -v[0:1]
	v_mul_f64 v[6:7], v[0:1], s[2:3]
	ds_read_b128 v[0:3], v76 offset:25200
	global_store_dwordx4 v[8:9], v[4:7], off
	s_clause 0x3
	buffer_load_dword v10, off, s[24:27], 0 offset:32
	buffer_load_dword v11, off, s[24:27], 0 offset:36
	buffer_load_dword v12, off, s[24:27], 0 offset:40
	buffer_load_dword v13, off, s[24:27], 0 offset:44
	v_add_co_u32 v8, vcc_lo, v8, s5
	v_add_co_ci_u32_e32 v9, vcc_lo, s4, v9, vcc_lo
	;; [unrolled: 16-line block ×4, first 2 shown]
	s_waitcnt vmcnt(0) lgkmcnt(0)
	v_mul_f64 v[4:5], v[12:13], v[2:3]
	v_fma_f64 v[4:5], v[10:11], v[0:1], v[4:5]
	v_mul_f64 v[0:1], v[12:13], v[0:1]
	v_mul_f64 v[4:5], v[4:5], s[2:3]
	v_fma_f64 v[0:1], v[10:11], v[2:3], -v[0:1]
	v_mul_f64 v[6:7], v[0:1], s[2:3]
	ds_read_b128 v[0:3], v76 offset:7200
	global_store_dwordx4 v[8:9], v[4:7], off
	s_clause 0x3
	buffer_load_dword v10, off, s[24:27], 0 offset:96
	buffer_load_dword v11, off, s[24:27], 0 offset:100
	;; [unrolled: 1-line block ×4, first 2 shown]
	v_mad_u64_u32 v[8:9], null, 0xffff6550, s0, v[8:9]
	v_add_nc_u32_e32 v9, s1, v9
	s_waitcnt vmcnt(0) lgkmcnt(0)
	v_mul_f64 v[4:5], v[12:13], v[2:3]
	v_fma_f64 v[4:5], v[10:11], v[0:1], v[4:5]
	v_mul_f64 v[0:1], v[12:13], v[0:1]
	v_mul_f64 v[4:5], v[4:5], s[2:3]
	v_fma_f64 v[0:1], v[10:11], v[2:3], -v[0:1]
	v_mul_f64 v[6:7], v[0:1], s[2:3]
	ds_read_b128 v[0:3], v76 offset:18000
	global_store_dwordx4 v[8:9], v[4:7], off
	s_clause 0x3
	buffer_load_dword v10, off, s[24:27], 0 offset:128
	buffer_load_dword v11, off, s[24:27], 0 offset:132
	;; [unrolled: 1-line block ×4, first 2 shown]
	v_add_co_u32 v8, vcc_lo, v8, s5
	v_add_co_ci_u32_e32 v9, vcc_lo, s4, v9, vcc_lo
	s_waitcnt vmcnt(0) lgkmcnt(0)
	v_mul_f64 v[4:5], v[12:13], v[2:3]
	v_fma_f64 v[4:5], v[10:11], v[0:1], v[4:5]
	v_mul_f64 v[0:1], v[12:13], v[0:1]
	v_mul_f64 v[4:5], v[4:5], s[2:3]
	v_fma_f64 v[0:1], v[10:11], v[2:3], -v[0:1]
	v_mul_f64 v[6:7], v[0:1], s[2:3]
	ds_read_b128 v[0:3], v76 offset:28800
	global_store_dwordx4 v[8:9], v[4:7], off
	s_clause 0x3
	buffer_load_dword v10, off, s[24:27], 0 offset:176
	buffer_load_dword v11, off, s[24:27], 0 offset:180
	;; [unrolled: 1-line block ×4, first 2 shown]
	v_add_co_u32 v8, vcc_lo, v8, s5
	v_add_co_ci_u32_e32 v9, vcc_lo, s4, v9, vcc_lo
	s_waitcnt vmcnt(0) lgkmcnt(0)
	v_mul_f64 v[4:5], v[12:13], v[2:3]
	v_fma_f64 v[4:5], v[10:11], v[0:1], v[4:5]
	v_mul_f64 v[0:1], v[12:13], v[0:1]
	v_mul_f64 v[4:5], v[4:5], s[2:3]
	v_fma_f64 v[0:1], v[10:11], v[2:3], -v[0:1]
	v_mul_f64 v[6:7], v[0:1], s[2:3]
	ds_read_b128 v[0:3], v76 offset:39600
	global_store_dwordx4 v[8:9], v[4:7], off
	s_clause 0x3
	buffer_load_dword v10, off, s[24:27], 0 offset:192
	buffer_load_dword v11, off, s[24:27], 0 offset:196
	;; [unrolled: 1-line block ×4, first 2 shown]
	s_waitcnt vmcnt(0) lgkmcnt(0)
	v_mul_f64 v[4:5], v[12:13], v[2:3]
	v_fma_f64 v[4:5], v[10:11], v[0:1], v[4:5]
	v_mul_f64 v[0:1], v[12:13], v[0:1]
	v_mul_f64 v[4:5], v[4:5], s[2:3]
	v_fma_f64 v[0:1], v[10:11], v[2:3], -v[0:1]
	v_mul_f64 v[6:7], v[0:1], s[2:3]
	v_add_co_u32 v0, vcc_lo, v8, s5
	v_add_co_ci_u32_e32 v1, vcc_lo, s4, v9, vcc_lo
	global_store_dwordx4 v[0:1], v[4:7], off
	ds_read_b128 v[2:5], v76 offset:50400
	s_clause 0x3
	buffer_load_dword v8, off, s[24:27], 0
	buffer_load_dword v9, off, s[24:27], 0 offset:4
	buffer_load_dword v10, off, s[24:27], 0 offset:8
	;; [unrolled: 1-line block ×3, first 2 shown]
	v_add_co_u32 v0, vcc_lo, v0, s5
	v_add_co_ci_u32_e32 v1, vcc_lo, s4, v1, vcc_lo
	s_waitcnt vmcnt(0) lgkmcnt(0)
	v_mul_f64 v[6:7], v[10:11], v[4:5]
	v_fma_f64 v[6:7], v[8:9], v[2:3], v[6:7]
	v_mul_f64 v[2:3], v[10:11], v[2:3]
	v_mul_f64 v[6:7], v[6:7], s[2:3]
	v_fma_f64 v[2:3], v[8:9], v[4:5], -v[2:3]
	v_mul_f64 v[8:9], v[2:3], s[2:3]
	global_store_dwordx4 v[0:1], v[6:9], off
.LBB0_2:
	s_endpgm
	.section	.rodata,"a",@progbits
	.p2align	6, 0x0
	.amdhsa_kernel bluestein_single_back_len3375_dim1_dp_op_CI_CI
		.amdhsa_group_segment_fixed_size 54000
		.amdhsa_private_segment_fixed_size 500
		.amdhsa_kernarg_size 104
		.amdhsa_user_sgpr_count 6
		.amdhsa_user_sgpr_private_segment_buffer 1
		.amdhsa_user_sgpr_dispatch_ptr 0
		.amdhsa_user_sgpr_queue_ptr 0
		.amdhsa_user_sgpr_kernarg_segment_ptr 1
		.amdhsa_user_sgpr_dispatch_id 0
		.amdhsa_user_sgpr_flat_scratch_init 0
		.amdhsa_user_sgpr_private_segment_size 0
		.amdhsa_wavefront_size32 1
		.amdhsa_uses_dynamic_stack 0
		.amdhsa_system_sgpr_private_segment_wavefront_offset 1
		.amdhsa_system_sgpr_workgroup_id_x 1
		.amdhsa_system_sgpr_workgroup_id_y 0
		.amdhsa_system_sgpr_workgroup_id_z 0
		.amdhsa_system_sgpr_workgroup_info 0
		.amdhsa_system_vgpr_workitem_id 0
		.amdhsa_next_free_vgpr 256
		.amdhsa_next_free_sgpr 28
		.amdhsa_reserve_vcc 1
		.amdhsa_reserve_flat_scratch 0
		.amdhsa_float_round_mode_32 0
		.amdhsa_float_round_mode_16_64 0
		.amdhsa_float_denorm_mode_32 3
		.amdhsa_float_denorm_mode_16_64 3
		.amdhsa_dx10_clamp 1
		.amdhsa_ieee_mode 1
		.amdhsa_fp16_overflow 0
		.amdhsa_workgroup_processor_mode 1
		.amdhsa_memory_ordered 1
		.amdhsa_forward_progress 0
		.amdhsa_shared_vgpr_count 0
		.amdhsa_exception_fp_ieee_invalid_op 0
		.amdhsa_exception_fp_denorm_src 0
		.amdhsa_exception_fp_ieee_div_zero 0
		.amdhsa_exception_fp_ieee_overflow 0
		.amdhsa_exception_fp_ieee_underflow 0
		.amdhsa_exception_fp_ieee_inexact 0
		.amdhsa_exception_int_div_zero 0
	.end_amdhsa_kernel
	.text
.Lfunc_end0:
	.size	bluestein_single_back_len3375_dim1_dp_op_CI_CI, .Lfunc_end0-bluestein_single_back_len3375_dim1_dp_op_CI_CI
                                        ; -- End function
	.section	.AMDGPU.csdata,"",@progbits
; Kernel info:
; codeLenInByte = 27216
; NumSgprs: 30
; NumVgprs: 256
; ScratchSize: 500
; MemoryBound: 0
; FloatMode: 240
; IeeeMode: 1
; LDSByteSize: 54000 bytes/workgroup (compile time only)
; SGPRBlocks: 3
; VGPRBlocks: 31
; NumSGPRsForWavesPerEU: 30
; NumVGPRsForWavesPerEU: 256
; Occupancy: 4
; WaveLimiterHint : 1
; COMPUTE_PGM_RSRC2:SCRATCH_EN: 1
; COMPUTE_PGM_RSRC2:USER_SGPR: 6
; COMPUTE_PGM_RSRC2:TRAP_HANDLER: 0
; COMPUTE_PGM_RSRC2:TGID_X_EN: 1
; COMPUTE_PGM_RSRC2:TGID_Y_EN: 0
; COMPUTE_PGM_RSRC2:TGID_Z_EN: 0
; COMPUTE_PGM_RSRC2:TIDIG_COMP_CNT: 0
	.text
	.p2alignl 6, 3214868480
	.fill 48, 4, 3214868480
	.type	__hip_cuid_56819843a0df26eb,@object ; @__hip_cuid_56819843a0df26eb
	.section	.bss,"aw",@nobits
	.globl	__hip_cuid_56819843a0df26eb
__hip_cuid_56819843a0df26eb:
	.byte	0                               ; 0x0
	.size	__hip_cuid_56819843a0df26eb, 1

	.ident	"AMD clang version 19.0.0git (https://github.com/RadeonOpenCompute/llvm-project roc-6.4.0 25133 c7fe45cf4b819c5991fe208aaa96edf142730f1d)"
	.section	".note.GNU-stack","",@progbits
	.addrsig
	.addrsig_sym __hip_cuid_56819843a0df26eb
	.amdgpu_metadata
---
amdhsa.kernels:
  - .args:
      - .actual_access:  read_only
        .address_space:  global
        .offset:         0
        .size:           8
        .value_kind:     global_buffer
      - .actual_access:  read_only
        .address_space:  global
        .offset:         8
        .size:           8
        .value_kind:     global_buffer
      - .actual_access:  read_only
        .address_space:  global
        .offset:         16
        .size:           8
        .value_kind:     global_buffer
      - .actual_access:  read_only
        .address_space:  global
        .offset:         24
        .size:           8
        .value_kind:     global_buffer
      - .actual_access:  read_only
        .address_space:  global
        .offset:         32
        .size:           8
        .value_kind:     global_buffer
      - .offset:         40
        .size:           8
        .value_kind:     by_value
      - .address_space:  global
        .offset:         48
        .size:           8
        .value_kind:     global_buffer
      - .address_space:  global
        .offset:         56
        .size:           8
        .value_kind:     global_buffer
      - .address_space:  global
        .offset:         64
        .size:           8
        .value_kind:     global_buffer
      - .address_space:  global
        .offset:         72
        .size:           8
        .value_kind:     global_buffer
      - .offset:         80
        .size:           4
        .value_kind:     by_value
      - .address_space:  global
        .offset:         88
        .size:           8
        .value_kind:     global_buffer
      - .address_space:  global
        .offset:         96
        .size:           8
        .value_kind:     global_buffer
    .group_segment_fixed_size: 54000
    .kernarg_segment_align: 8
    .kernarg_segment_size: 104
    .language:       OpenCL C
    .language_version:
      - 2
      - 0
    .max_flat_workgroup_size: 225
    .name:           bluestein_single_back_len3375_dim1_dp_op_CI_CI
    .private_segment_fixed_size: 500
    .sgpr_count:     30
    .sgpr_spill_count: 0
    .symbol:         bluestein_single_back_len3375_dim1_dp_op_CI_CI.kd
    .uniform_work_group_size: 1
    .uses_dynamic_stack: false
    .vgpr_count:     256
    .vgpr_spill_count: 124
    .wavefront_size: 32
    .workgroup_processor_mode: 1
amdhsa.target:   amdgcn-amd-amdhsa--gfx1030
amdhsa.version:
  - 1
  - 2
...

	.end_amdgpu_metadata
